;; amdgpu-corpus repo=ROCm/rocFFT kind=compiled arch=gfx950 opt=O3
	.text
	.amdgcn_target "amdgcn-amd-amdhsa--gfx950"
	.amdhsa_code_object_version 6
	.protected	fft_rtc_fwd_len1156_factors_17_2_17_2_wgs_204_tpt_68_halfLds_sp_op_CI_CI_unitstride_sbrr_dirReg ; -- Begin function fft_rtc_fwd_len1156_factors_17_2_17_2_wgs_204_tpt_68_halfLds_sp_op_CI_CI_unitstride_sbrr_dirReg
	.globl	fft_rtc_fwd_len1156_factors_17_2_17_2_wgs_204_tpt_68_halfLds_sp_op_CI_CI_unitstride_sbrr_dirReg
	.p2align	8
	.type	fft_rtc_fwd_len1156_factors_17_2_17_2_wgs_204_tpt_68_halfLds_sp_op_CI_CI_unitstride_sbrr_dirReg,@function
fft_rtc_fwd_len1156_factors_17_2_17_2_wgs_204_tpt_68_halfLds_sp_op_CI_CI_unitstride_sbrr_dirReg: ; @fft_rtc_fwd_len1156_factors_17_2_17_2_wgs_204_tpt_68_halfLds_sp_op_CI_CI_unitstride_sbrr_dirReg
; %bb.0:
	s_load_dwordx4 s[4:7], s[0:1], 0x58
                                        ; implicit-def: $vgpr121 : SGPR spill to VGPR lane
	v_mul_u32_u24_e32 v1, 0x3c4, v0
	v_lshrrev_b32_e32 v2, 16, v1
	v_mad_u64_u32 v[28:29], s[2:3], s2, 3, v[2:3]
	s_waitcnt lgkmcnt(0)
	v_writelane_b32 v121, s4, 0
	v_mov_b32_e32 v2, 0
	v_mov_b32_e32 v29, v2
	v_writelane_b32 v121, s5, 1
	v_writelane_b32 v121, s6, 2
	;; [unrolled: 1-line block ×3, first 2 shown]
	s_load_dwordx4 s[4:7], s[0:1], 0x0
	s_load_dwordx4 s[12:15], s[0:1], 0x18
	v_mov_b64_e32 v[30:31], 0
	v_mov_b64_e32 v[20:21], v[30:31]
	;; [unrolled: 1-line block ×3, first 2 shown]
	s_waitcnt lgkmcnt(0)
	v_writelane_b32 v121, s4, 4
	s_nop 1
	v_writelane_b32 v121, s5, 5
	v_cmp_lt_u64_e64 s[2:3], s[6:7], 2
	v_writelane_b32 v121, s6, 6
	s_and_b64 vcc, exec, s[2:3]
	v_writelane_b32 v121, s7, 7
	s_cbranch_vccnz .LBB0_8
; %bb.1:
	s_load_dwordx2 s[2:3], s[0:1], 0x10
	s_add_u32 s4, s14, 8
	s_addc_u32 s5, s15, 0
	s_add_u32 s6, s12, 8
	s_addc_u32 s7, s13, 0
	s_waitcnt lgkmcnt(0)
	s_add_u32 s8, s2, 8
	v_mov_b64_e32 v[30:31], 0
	s_addc_u32 s9, s3, 0
	s_mov_b64 s[10:11], 1
	v_mov_b64_e32 v[20:21], v[30:31]
	v_mov_b64_e32 v[4:5], v[28:29]
.LBB0_2:                                ; =>This Inner Loop Header: Depth=1
	s_load_dwordx2 s[16:17], s[8:9], 0x0
                                        ; implicit-def: $vgpr24_vgpr25
	s_waitcnt lgkmcnt(0)
	v_or_b32_e32 v3, s17, v5
	v_cmp_ne_u64_e32 vcc, 0, v[2:3]
	s_and_saveexec_b64 s[2:3], vcc
	s_xor_b64 s[18:19], exec, s[2:3]
	s_cbranch_execz .LBB0_4
; %bb.3:                                ;   in Loop: Header=BB0_2 Depth=1
	v_cvt_f32_u32_e32 v1, s16
	v_cvt_f32_u32_e32 v3, s17
	s_sub_u32 s2, 0, s16
	s_subb_u32 s3, 0, s17
	v_fmac_f32_e32 v1, 0x4f800000, v3
	v_rcp_f32_e32 v1, v1
	s_nop 0
	v_mul_f32_e32 v1, 0x5f7ffffc, v1
	v_mul_f32_e32 v3, 0x2f800000, v1
	v_trunc_f32_e32 v3, v3
	v_fmac_f32_e32 v1, 0xcf800000, v3
	v_cvt_u32_f32_e32 v3, v3
	v_cvt_u32_f32_e32 v1, v1
	v_mul_lo_u32 v6, s2, v3
	v_mul_hi_u32 v8, s2, v1
	v_mul_lo_u32 v7, s3, v1
	v_add_u32_e32 v8, v8, v6
	v_mul_lo_u32 v10, s2, v1
	v_add_u32_e32 v11, v8, v7
	v_mul_hi_u32 v6, v1, v10
	v_mul_hi_u32 v9, v1, v11
	v_mul_lo_u32 v8, v1, v11
	v_mov_b32_e32 v7, v2
	v_lshl_add_u64 v[6:7], v[6:7], 0, v[8:9]
	v_mul_hi_u32 v9, v3, v10
	v_mul_lo_u32 v10, v3, v10
	v_add_co_u32_e32 v6, vcc, v6, v10
	v_mul_hi_u32 v8, v3, v11
	s_nop 0
	v_addc_co_u32_e32 v6, vcc, v7, v9, vcc
	v_mov_b32_e32 v7, v2
	s_nop 0
	v_addc_co_u32_e32 v9, vcc, 0, v8, vcc
	v_mul_lo_u32 v8, v3, v11
	v_lshl_add_u64 v[6:7], v[6:7], 0, v[8:9]
	v_add_co_u32_e32 v1, vcc, v1, v6
	v_mul_lo_u32 v8, s2, v1
	s_nop 0
	v_addc_co_u32_e32 v3, vcc, v3, v7, vcc
	v_mul_lo_u32 v6, s2, v3
	v_mul_hi_u32 v7, s2, v1
	v_add_u32_e32 v6, v7, v6
	v_mul_lo_u32 v7, s3, v1
	v_add_u32_e32 v10, v6, v7
	v_mul_hi_u32 v12, v3, v8
	v_mul_lo_u32 v13, v3, v8
	v_mul_hi_u32 v7, v1, v10
	v_mul_lo_u32 v6, v1, v10
	v_mul_hi_u32 v8, v1, v8
	v_mov_b32_e32 v9, v2
	v_lshl_add_u64 v[6:7], v[8:9], 0, v[6:7]
	v_add_co_u32_e32 v6, vcc, v6, v13
	v_mul_hi_u32 v11, v3, v10
	s_nop 0
	v_addc_co_u32_e32 v6, vcc, v7, v12, vcc
	v_mul_lo_u32 v8, v3, v10
	s_nop 0
	v_addc_co_u32_e32 v9, vcc, 0, v11, vcc
	v_mov_b32_e32 v7, v2
	v_lshl_add_u64 v[6:7], v[6:7], 0, v[8:9]
	v_add_co_u32_e32 v1, vcc, v1, v6
	v_mul_hi_u32 v8, v4, v1
	s_nop 0
	v_addc_co_u32_e32 v3, vcc, v3, v7, vcc
	v_mad_u64_u32 v[6:7], s[2:3], v4, v3, 0
	v_mov_b32_e32 v9, v2
	v_lshl_add_u64 v[6:7], v[8:9], 0, v[6:7]
	v_mad_u64_u32 v[10:11], s[2:3], v5, v1, 0
	v_add_co_u32_e32 v1, vcc, v6, v10
	v_mad_u64_u32 v[8:9], s[2:3], v5, v3, 0
	s_nop 0
	v_addc_co_u32_e32 v6, vcc, v7, v11, vcc
	v_mov_b32_e32 v7, v2
	s_nop 0
	v_addc_co_u32_e32 v9, vcc, 0, v9, vcc
	v_lshl_add_u64 v[6:7], v[6:7], 0, v[8:9]
	v_mul_lo_u32 v1, s17, v6
	v_mul_lo_u32 v3, s16, v7
	v_mad_u64_u32 v[8:9], s[2:3], s16, v6, 0
	v_add3_u32 v1, v9, v3, v1
	v_sub_u32_e32 v3, v5, v1
	v_mov_b32_e32 v9, s17
	v_sub_co_u32_e32 v12, vcc, v4, v8
	v_lshl_add_u64 v[10:11], v[6:7], 0, 1
	s_nop 0
	v_subb_co_u32_e64 v3, s[2:3], v3, v9, vcc
	v_subrev_co_u32_e64 v8, s[2:3], s16, v12
	v_subb_co_u32_e32 v1, vcc, v5, v1, vcc
	s_nop 0
	v_subbrev_co_u32_e64 v3, s[2:3], 0, v3, s[2:3]
	v_cmp_le_u32_e64 s[2:3], s17, v3
	v_cmp_le_u32_e32 vcc, s17, v1
	s_nop 0
	v_cndmask_b32_e64 v9, 0, -1, s[2:3]
	v_cmp_le_u32_e64 s[2:3], s16, v8
	s_nop 1
	v_cndmask_b32_e64 v8, 0, -1, s[2:3]
	v_cmp_eq_u32_e64 s[2:3], s17, v3
	s_nop 1
	v_cndmask_b32_e64 v3, v9, v8, s[2:3]
	v_lshl_add_u64 v[8:9], v[6:7], 0, 2
	v_cmp_ne_u32_e64 s[2:3], 0, v3
	s_nop 1
	v_cndmask_b32_e64 v3, v11, v9, s[2:3]
	v_cndmask_b32_e64 v9, 0, -1, vcc
	v_cmp_le_u32_e32 vcc, s16, v12
	s_nop 1
	v_cndmask_b32_e64 v11, 0, -1, vcc
	v_cmp_eq_u32_e32 vcc, s17, v1
	s_nop 1
	v_cndmask_b32_e32 v1, v9, v11, vcc
	v_cmp_ne_u32_e32 vcc, 0, v1
	v_cndmask_b32_e64 v1, v10, v8, s[2:3]
	s_nop 0
	v_cndmask_b32_e32 v25, v7, v3, vcc
	v_cndmask_b32_e32 v24, v6, v1, vcc
.LBB0_4:                                ;   in Loop: Header=BB0_2 Depth=1
	s_andn2_saveexec_b64 s[2:3], s[18:19]
	s_cbranch_execz .LBB0_6
; %bb.5:                                ;   in Loop: Header=BB0_2 Depth=1
	v_cvt_f32_u32_e32 v1, s16
	s_sub_i32 s18, 0, s16
	v_mov_b32_e32 v25, v2
	v_rcp_iflag_f32_e32 v1, v1
	s_nop 0
	v_mul_f32_e32 v1, 0x4f7ffffe, v1
	v_cvt_u32_f32_e32 v1, v1
	v_mul_lo_u32 v3, s18, v1
	v_mul_hi_u32 v3, v1, v3
	v_add_u32_e32 v1, v1, v3
	v_mul_hi_u32 v1, v4, v1
	v_mul_lo_u32 v3, v1, s16
	v_sub_u32_e32 v3, v4, v3
	v_add_u32_e32 v6, 1, v1
	v_subrev_u32_e32 v7, s16, v3
	v_cmp_le_u32_e32 vcc, s16, v3
	s_nop 1
	v_cndmask_b32_e32 v3, v3, v7, vcc
	v_cndmask_b32_e32 v1, v1, v6, vcc
	v_add_u32_e32 v6, 1, v1
	v_cmp_le_u32_e32 vcc, s16, v3
	s_nop 1
	v_cndmask_b32_e32 v24, v1, v6, vcc
.LBB0_6:                                ;   in Loop: Header=BB0_2 Depth=1
	s_or_b64 exec, exec, s[2:3]
	v_mad_u64_u32 v[6:7], s[2:3], v24, s16, 0
	s_load_dwordx2 s[2:3], s[6:7], 0x0
	v_mul_lo_u32 v1, v25, s16
	v_mul_lo_u32 v3, v24, s17
	s_load_dwordx2 s[16:17], s[4:5], 0x0
	v_add3_u32 v1, v7, v3, v1
	v_sub_co_u32_e32 v3, vcc, v4, v6
	s_add_u32 s10, s10, 1
	s_nop 0
	v_subb_co_u32_e32 v1, vcc, v5, v1, vcc
	s_waitcnt lgkmcnt(0)
	v_mul_lo_u32 v4, s2, v1
	v_mul_lo_u32 v5, s3, v3
	v_mad_u64_u32 v[30:31], s[2:3], s2, v3, v[30:31]
	v_add3_u32 v31, v5, v31, v4
	v_mul_lo_u32 v1, s16, v1
	v_mul_lo_u32 v4, s17, v3
	v_mad_u64_u32 v[20:21], s[2:3], s16, v3, v[20:21]
	s_load_dwordx4 s[16:19], s[0:1], 0x0
	s_addc_u32 s11, s11, 0
	s_add_u32 s4, s4, 8
	s_addc_u32 s5, s5, 0
	s_add_u32 s6, s6, 8
	v_add3_u32 v21, v4, v21, v1
	s_addc_u32 s7, s7, 0
	s_waitcnt lgkmcnt(0)
	v_mov_b64_e32 v[4:5], s[18:19]
	s_add_u32 s8, s8, 8
	v_cmp_ge_u64_e32 vcc, s[10:11], v[4:5]
	s_addc_u32 s9, s9, 0
	s_cbranch_vccnz .LBB0_8
; %bb.7:                                ;   in Loop: Header=BB0_2 Depth=1
	v_mov_b64_e32 v[4:5], v[24:25]
	s_branch .LBB0_2
.LBB0_8:
	s_load_dwordx2 s[0:1], s[0:1], 0x28
	v_readlane_b32 s4, v121, 4
	v_readlane_b32 s5, v121, 5
	;; [unrolled: 1-line block ×4, first 2 shown]
	s_lshl_b64 s[4:5], s[6:7], 3
	s_add_u32 vcc_lo, s14, s4
	s_waitcnt lgkmcnt(0)
	v_cmp_gt_u64_e64 s[2:3], s[0:1], v[24:25]
	s_addc_u32 vcc_hi, s15, s5
	v_cmp_le_u64_e64 s[0:1], s[0:1], v[24:25]
	v_writelane_b32 v121, s2, 8
                                        ; implicit-def: $sgpr6_sgpr7
                                        ; implicit-def: $vgpr22
	s_nop 1
	v_writelane_b32 v121, s3, 9
	s_and_saveexec_b64 s[2:3], s[0:1]
	s_xor_b64 s[0:1], exec, s[2:3]
; %bb.9:
	s_mov_b32 s2, 0x3c3c3c4
	v_mul_hi_u32 v1, v0, s2
	v_mul_u32_u24_e32 v1, 0x44, v1
	v_sub_u32_e32 v22, v0, v1
	s_mov_b64 s[6:7], 0
                                        ; implicit-def: $vgpr0
                                        ; implicit-def: $vgpr30_vgpr31
; %bb.10:
	s_or_saveexec_b64 s[2:3], s[0:1]
	v_mov_b64_e32 v[2:3], s[6:7]
                                        ; implicit-def: $vgpr44
                                        ; implicit-def: $vgpr50
                                        ; implicit-def: $vgpr52
                                        ; implicit-def: $vgpr54
                                        ; implicit-def: $vgpr46
                                        ; implicit-def: $vgpr48
                                        ; implicit-def: $vgpr12
                                        ; implicit-def: $vgpr8
                                        ; implicit-def: $vgpr10
                                        ; implicit-def: $vgpr14
                                        ; implicit-def: $vgpr16
                                        ; implicit-def: $vgpr6
                                        ; implicit-def: $vgpr4
                                        ; implicit-def: $vgpr18
                                        ; implicit-def: $vgpr34
                                        ; implicit-def: $vgpr26
	s_xor_b64 exec, exec, s[2:3]
	s_cbranch_execz .LBB0_12
; %bb.11:
	s_add_u32 s0, s12, s4
	s_addc_u32 s1, s13, s5
	s_load_dwordx2 s[0:1], s[0:1], 0x0
	s_mov_b32 s4, 0x3c3c3c4
	s_waitcnt lgkmcnt(0)
	v_mul_lo_u32 v1, s1, v24
	v_mul_lo_u32 v4, s0, v25
	v_mad_u64_u32 v[2:3], s[0:1], s0, v24, 0
	v_add3_u32 v3, v3, v4, v1
	v_mul_hi_u32 v1, v0, s4
	v_readlane_b32 s4, v121, 0
	v_mul_u32_u24_e32 v1, 0x44, v1
	v_readlane_b32 s5, v121, 1
	v_sub_u32_e32 v22, v0, v1
	s_movk_i32 s0, 0x1000
	v_lshl_add_u64 v[0:1], v[2:3], 3, s[4:5]
	v_lshl_add_u64 v[0:1], v[30:31], 3, v[0:1]
	v_lshlrev_b32_e32 v2, 3, v22
	v_mov_b32_e32 v3, 0
	v_lshl_add_u64 v[0:1], v[0:1], 0, v[2:3]
	v_add_co_u32_e64 v6, s[0:1], s0, v0
	global_load_dwordx2 v[2:3], v[0:1], off
	global_load_dwordx2 v[44:45], v[0:1], off offset:544
	global_load_dwordx2 v[50:51], v[0:1], off offset:1088
	global_load_dwordx2 v[52:53], v[0:1], off offset:1632
	global_load_dwordx2 v[54:55], v[0:1], off offset:2176
	global_load_dwordx2 v[46:47], v[0:1], off offset:2720
	global_load_dwordx2 v[48:49], v[0:1], off offset:3264
	global_load_dwordx2 v[12:13], v[0:1], off offset:3808
	v_addc_co_u32_e64 v7, s[0:1], 0, v1, s[0:1]
	global_load_dwordx2 v[8:9], v[6:7], off offset:256
	global_load_dwordx2 v[26:27], v[6:7], off offset:800
	;; [unrolled: 1-line block ×8, first 2 shown]
	s_movk_i32 s0, 0x2000
	v_add_co_u32_e64 v0, s[0:1], s0, v0
	v_readlane_b32 s6, v121, 2
	s_nop 0
	v_addc_co_u32_e64 v1, s[0:1], 0, v1, s[0:1]
	global_load_dwordx2 v[6:7], v[0:1], off offset:512
	v_readlane_b32 s7, v121, 3
.LBB0_12:
	s_or_b64 exec, exec, s[2:3]
	s_mov_b32 s0, 0xaaaaaaab
	v_mul_hi_u32 v0, v28, s0
	v_lshrrev_b32_e32 v0, 1, v0
	v_lshl_add_u32 v0, v0, 1, v0
	v_sub_u32_e32 v106, v28, v0
	s_waitcnt vmcnt(1)
	v_pk_add_f32 v[0:1], v[50:51], v[4:5]
	v_pk_add_f32 v[28:29], v[50:51], v[4:5] neg_lo:[0,1] neg_hi:[0,1]
	s_mov_b32 s16, 0x3f3d2fb0
	v_mov_b32_e32 v30, v0
	v_mov_b32_e32 v31, v29
	s_mov_b32 s17, 0xbf2c7751
	v_pk_mul_f32 v[58:59], v[30:31], s[16:17]
	v_pk_add_f32 v[80:81], v[52:53], v[16:17]
	v_mov_b32_e32 v23, v58
	v_pk_fma_f32 v[88:89], v[30:31], s[16:17], v[22:23] neg_lo:[1,0,0] neg_hi:[1,0,0]
	v_pk_add_f32 v[30:31], v[52:53], v[16:17] neg_lo:[0,1] neg_hi:[0,1]
	v_mov_b32_e32 v32, v80
	v_mov_b32_e32 v33, v31
	s_mov_b32 s43, 0xbf65296c
	s_mov_b32 s42, 0x3ee437d1
	v_pk_mul_f32 v[62:63], v[32:33], s[42:43]
	v_pk_add_f32 v[82:83], v[54:55], v[18:19]
	v_mov_b32_e32 v23, v62
	v_pk_fma_f32 v[90:91], v[32:33], s[42:43], v[22:23] neg_lo:[1,0,0] neg_hi:[1,0,0]
	v_pk_add_f32 v[32:33], v[54:55], v[18:19] neg_lo:[0,1] neg_hi:[0,1]
	s_mov_b32 s88, 0x3dbcf732
	v_mov_b32_e32 v36, v82
	v_mov_b32_e32 v37, v33
	s_mov_b32 s89, 0xbf7ee86f
	v_pk_mul_f32 v[66:67], v[36:37], s[88:89]
	v_pk_add_f32 v[84:85], v[46:47], v[14:15]
	v_mov_b32_e32 v23, v66
	v_pk_add_f32 v[60:61], v[46:47], v[14:15] neg_lo:[0,1] neg_hi:[0,1]
	s_mov_b32 s12, 0xbe8c1d8e
	v_pk_fma_f32 v[92:93], v[36:37], s[88:89], v[22:23] neg_lo:[1,0,0] neg_hi:[1,0,0]
	v_mov_b32_e32 v36, v84
	v_mov_b32_e32 v37, v61
	s_mov_b32 s13, 0xbf763a35
	v_pk_mul_f32 v[68:69], v[36:37], s[12:13]
	s_mov_b32 s66, 0xbf1a4643
	v_mov_b32_e32 v23, v68
	v_pk_add_f32 v[86:87], v[48:49], v[34:35]
	v_pk_add_f32 v[64:65], v[48:49], v[34:35] neg_lo:[0,1] neg_hi:[0,1]
	v_pk_fma_f32 v[94:95], v[36:37], s[12:13], v[22:23] neg_lo:[1,0,0] neg_hi:[1,0,0]
	s_mov_b32 s67, 0xbf4c4adb
	v_mov_b32_e32 v36, v86
	v_mov_b32_e32 v37, v65
	v_pk_mul_f32 v[70:71], v[36:37], s[66:67]
	s_mov_b32 s22, 0xbf59a7d5
	v_mov_b32_e32 v23, v70
	v_pk_fma_f32 v[96:97], v[36:37], s[66:67], v[22:23] neg_lo:[1,0,0] neg_hi:[1,0,0]
	v_pk_add_f32 v[36:37], v[12:13], v[10:11]
	v_pk_add_f32 v[42:43], v[12:13], v[10:11] neg_lo:[0,1] neg_hi:[0,1]
	s_mov_b32 s23, 0xbf06c442
	v_mov_b32_e32 v38, v36
	v_mov_b32_e32 v39, v43
	v_pk_mul_f32 v[74:75], v[38:39], s[22:23]
	s_mov_b32 s18, 0xbf7ba420
	v_mov_b32_e32 v23, v74
	v_pk_fma_f32 v[98:99], v[38:39], s[22:23], v[22:23] neg_lo:[1,0,0] neg_hi:[1,0,0]
	v_pk_add_f32 v[38:39], v[8:9], v[26:27]
	v_pk_add_f32 v[40:41], v[8:9], v[26:27] neg_lo:[0,1] neg_hi:[0,1]
	s_mov_b32 s19, 0xbe3c28d5
	v_mov_b32_e32 v56, v38
	v_mov_b32_e32 v57, v41
	v_pk_mul_f32 v[76:77], v[56:57], s[18:19]
	s_waitcnt vmcnt(0)
	v_mov_b32_e32 v73, v6
	v_mov_b32_e32 v23, v76
	v_pk_fma_f32 v[100:101], v[56:57], s[18:19], v[22:23] neg_lo:[1,0,0] neg_hi:[1,0,0]
	v_add_f32_e32 v23, v44, v2
	v_add_f32_e32 v23, v50, v23
	;; [unrolled: 1-line block ×4, first 2 shown]
	v_mov_b32_e32 v56, v48
	v_mov_b32_e32 v57, v44
	v_add_f32_e32 v72, v46, v23
	v_pk_add_f32 v[78:79], v[56:57], v[72:73]
	v_pk_add_f32 v[72:73], v[44:45], v[6:7] neg_lo:[0,1] neg_hi:[0,1]
	v_mov_b32_e32 v57, 0x3f6eb680
	v_mov_b32_e32 v56, v12
	v_mul_f32_e32 v103, 0xbeb8f4ab, v73
	v_mov_b32_e32 v102, v8
	v_pk_add_f32 v[104:105], v[12:13], v[78:79]
	v_pk_fma_f32 v[102:103], v[56:57], v[78:79], v[102:103] neg_lo:[0,0,1] neg_hi:[0,0,1]
	v_pk_add_f32 v[104:105], v[104:105], v[8:9]
	v_mov_b32_e32 v102, v26
	v_mov_b32_e32 v105, v103
	;; [unrolled: 1-line block ×3, first 2 shown]
	v_pk_add_f32 v[102:103], v[102:103], v[104:105]
	v_mov_b32_e32 v88, v10
	v_pk_add_f32 v[88:89], v[88:89], v[102:103]
	v_mov_b32_e32 v90, v34
	;; [unrolled: 2-line block ×6, first 2 shown]
	v_mul_u32_u24_e32 v120, 0x484, v106
	v_pk_add_f32 v[88:89], v[98:99], v[88:89]
	v_mov_b32_e32 v100, v6
	s_movk_i32 s0, 0x44
	v_lshl_add_u32 v10, v120, 2, 0
	v_pk_add_f32 v[88:89], v[100:101], v[88:89]
	v_mad_u32_u24 v8, v22, s0, v10
	s_mov_b32 s2, s16
	s_mov_b32 s3, s42
	ds_write2_b32 v8, v88, v89 offset1:1
	s_mov_b32 s70, s17
	s_mov_b32 s71, s43
	v_writelane_b32 v121, s2, 10
	s_mov_b32 s0, s88
	s_mov_b32 s1, s66
	v_pk_mul_f32 v[88:89], v[78:79], s[2:3] op_sel:[1,0]
	v_writelane_b32 v121, s3, 11
	v_pk_fma_f32 v[90:91], v[72:73], s[70:71], v[88:89] op_sel:[1,0,0] neg_lo:[1,0,0] neg_hi:[1,0,0]
	s_mov_b32 s38, s89
	s_mov_b32 s39, s67
	v_pk_add_f32 v[92:93], v[90:91], v[2:3] op_sel_hi:[1,0]
	v_writelane_b32 v121, s0, 12
	s_mov_b32 s75, 0x3e3c28d5
	s_mov_b32 s74, s67
	v_pk_mul_f32 v[90:91], v[0:1], s[0:1] op_sel_hi:[0,1]
	v_writelane_b32 v121, s1, 13
	v_pk_fma_f32 v[94:95], v[28:29], s[38:39], v[90:91] op_sel:[1,0,0] neg_lo:[1,0,0] neg_hi:[1,0,0]
	s_mov_b32 s0, s66
	s_mov_b32 s1, s18
	v_pk_add_f32 v[94:95], v[94:95], v[92:93]
	v_writelane_b32 v121, s0, 14
	s_mov_b32 s79, 0x3f763a35
	s_mov_b32 s78, s19
	v_pk_mul_f32 v[92:93], v[80:81], s[0:1] op_sel_hi:[0,1]
	v_writelane_b32 v121, s1, 15
	v_pk_fma_f32 v[96:97], v[30:31], s[74:75], v[92:93] op_sel:[1,0,0] neg_lo:[1,0,0] neg_hi:[1,0,0]
	s_mov_b32 s0, s18
	s_mov_b32 s1, s12
	v_pk_add_f32 v[96:97], v[96:97], v[94:95]
	;; [unrolled: 9-line block ×3, first 2 shown]
	v_writelane_b32 v121, s0, 18
	s_mov_b32 s35, 0x3f6eb680
	s_mov_b32 s34, s12
	v_pk_mul_f32 v[96:97], v[84:85], s[0:1] op_sel_hi:[0,1]
	v_pk_fma_f32 v[100:101], v[60:61], s[36:37], v[96:97] op_sel:[1,0,0] neg_lo:[1,0,0] neg_hi:[1,0,0]
	s_mov_b32 s51, 0xbeb8f4ab
	v_pk_add_f32 v[100:101], v[100:101], v[98:99]
	s_mov_b32 s50, s79
	v_pk_mul_f32 v[98:99], v[86:87], s[34:35] op_sel_hi:[0,1]
	v_pk_fma_f32 v[102:103], v[64:65], s[50:51], v[98:99] op_sel:[1,0,0] neg_lo:[1,0,0] neg_hi:[1,0,0]
	s_mov_b32 s30, s42
	s_mov_b32 s31, s88
	v_pk_add_f32 v[102:103], v[102:103], v[100:101]
	s_mov_b32 s48, 0x3f65296c
	s_mov_b32 s49, s89
	v_pk_mul_f32 v[100:101], v[36:37], s[30:31] op_sel_hi:[0,1]
	v_writelane_b32 v121, s1, 19
	v_pk_fma_f32 v[104:105], v[42:43], s[48:49], v[100:101] op_sel:[1,0,0] neg_lo:[1,0,0] neg_hi:[1,0,0]
	s_mov_b32 s0, s35
	s_mov_b32 s1, s22
	v_pk_add_f32 v[104:105], v[104:105], v[102:103]
	s_mov_b32 s52, 0x3eb8f4ab
	s_mov_b32 s53, s23
	v_writelane_b32 v121, s0, 20
	s_mov_b32 s54, s88
	s_mov_b32 s55, s12
	v_pk_mul_f32 v[102:103], v[38:39], s[0:1] op_sel_hi:[0,1]
	v_pk_fma_f32 v[106:107], v[40:41], s[52:53], v[102:103] op_sel:[1,0,0] neg_lo:[1,0,0] neg_hi:[1,0,0]
	v_writelane_b32 v121, s1, 21
	v_pk_add_f32 v[104:105], v[106:107], v[104:105]
	s_mov_b32 s40, s89
	s_mov_b32 s41, s13
	;; [unrolled: 1-line block ×4, first 2 shown]
	v_pk_mul_f32 v[108:109], v[78:79], s[54:55] op_sel:[1,0]
	ds_write2_b32 v8, v104, v105 offset0:2 offset1:3
	s_mov_b32 s44, s19
	s_mov_b32 s45, s36
	v_pk_fma_f32 v[104:105], v[72:73], s[40:41], v[108:109] op_sel:[1,0,0] neg_lo:[1,0,0] neg_hi:[1,0,0]
	v_writelane_b32 v121, s0, 22
	s_mov_b32 s56, s12
	s_mov_b32 s57, s16
	v_pk_mul_f32 v[116:117], v[0:1], s[0:1] op_sel_hi:[0,1]
	v_pk_add_f32 v[104:105], v[104:105], v[2:3] op_sel_hi:[1,0]
	v_pk_fma_f32 v[106:107], v[28:29], s[44:45], v[116:117] op_sel:[1,0,0] neg_lo:[1,0,0] neg_hi:[1,0,0]
	s_mov_b32 s76, s79
	s_mov_b32 s77, s37
	v_pk_mul_f32 v[112:113], v[80:81], s[56:57] op_sel_hi:[0,1]
	v_pk_add_f32 v[104:105], v[106:107], v[104:105]
	v_pk_fma_f32 v[106:107], v[30:31], s[76:77], v[112:113] op_sel:[1,0,0] neg_lo:[1,0,0] neg_hi:[1,0,0]
	s_mov_b32 s58, s35
	s_mov_b32 s59, s42
	v_pk_add_f32 v[106:107], v[106:107], v[104:105]
	s_mov_b32 s82, s52
	s_mov_b32 s83, s43
	v_pk_mul_f32 v[104:105], v[82:83], s[58:59] op_sel_hi:[0,1]
	v_pk_fma_f32 v[110:111], v[32:33], s[82:83], v[104:105] op_sel:[1,0,0] neg_lo:[1,0,0] neg_hi:[1,0,0]
	s_mov_b32 s62, s42
	s_mov_b32 s63, s18
	v_pk_add_f32 v[110:111], v[110:111], v[106:107]
	s_mov_b32 s86, s43
	s_mov_b32 s87, s19
	v_pk_mul_f32 v[106:107], v[84:85], s[62:63] op_sel_hi:[0,1]
	;; [unrolled: 7-line block ×5, first 2 shown]
	v_pk_fma_f32 v[124:125], v[40:41], s[94:95], v[118:119] op_sel:[1,0,0] neg_lo:[1,0,0] neg_hi:[1,0,0]
	s_mov_b32 s96, s66
	v_pk_add_f32 v[122:123], v[124:125], v[122:123]
	s_mov_b32 s97, s22
	ds_write2_b32 v8, v122, v123 offset0:4 offset1:5
	s_mov_b32 s80, s67
	s_mov_b32 s81, s23
	;; [unrolled: 1-line block ×4, first 2 shown]
	v_pk_mul_f32 v[122:123], v[78:79], s[96:97] op_sel:[1,0]
	s_mov_b32 s84, s79
	s_mov_b32 s85, s48
	v_pk_fma_f32 v[124:125], v[72:73], s[80:81], v[122:123] op_sel:[1,0,0] neg_lo:[1,0,0] neg_hi:[1,0,0]
	v_pk_mul_f32 v[126:127], v[0:1], s[60:61] op_sel_hi:[0,1]
	v_pk_add_f32 v[124:125], v[124:125], v[2:3] op_sel_hi:[1,0]
	v_pk_fma_f32 v[128:129], v[28:29], s[84:85], v[126:127] op_sel:[1,0,0] neg_lo:[1,0,0] neg_hi:[1,0,0]
	s_mov_b32 s98, s35
	s_mov_b32 s99, s88
	v_pk_add_f32 v[124:125], v[128:129], v[124:125]
	s_mov_b32 s2, s51
	s_mov_b32 s3, s89
	v_pk_mul_f32 v[128:129], v[80:81], s[98:99] op_sel_hi:[0,1]
	v_pk_fma_f32 v[130:131], v[30:31], s[2:3], v[128:129] op_sel:[1,0,0] neg_lo:[1,0,0] neg_hi:[1,0,0]
	s_mov_b32 s10, s22
	s_mov_b32 s11, s66
	v_pk_add_f32 v[124:125], v[130:131], v[124:125]
	s_mov_b32 s8, s23
	s_mov_b32 s9, s92
	v_pk_mul_f32 v[130:131], v[82:83], s[10:11] op_sel_hi:[0,1]
	v_pk_fma_f32 v[132:133], v[32:33], s[8:9], v[130:131] op_sel:[1,0,0] neg_lo:[1,0,0] neg_hi:[1,0,0]
	s_mov_b32 s6, s88
	s_mov_b32 s7, s35
	v_writelane_b32 v121, s1, 23
	v_pk_add_f32 v[124:125], v[132:133], v[124:125]
	s_mov_b32 s0, s91
	s_mov_b32 s1, s51
	v_pk_mul_f32 v[132:133], v[84:85], s[6:7] op_sel_hi:[0,1]
	v_pk_fma_f32 v[134:135], v[60:61], s[0:1], v[132:133] op_sel:[1,0,0] neg_lo:[1,0,0] neg_hi:[1,0,0]
	s_mov_b32 s14, s16
	s_mov_b32 s15, s18
	v_pk_add_f32 v[124:125], v[134:135], v[124:125]
	v_pk_mul_f32 v[134:135], v[86:87], s[14:15] op_sel_hi:[0,1]
	s_mov_b32 s20, s17
	s_mov_b32 s21, s19
	;; [unrolled: 1-line block ×4, first 2 shown]
	v_pk_fma_f32 v[136:137], v[64:65], s[20:21], v[134:135] op_sel:[1,0,0] neg_lo:[1,0,0] neg_hi:[1,0,0]
	v_pk_mul_f32 v[138:139], v[36:37], s[4:5] op_sel_hi:[0,1]
	s_mov_b32 s24, s19
	s_mov_b32 s25, s37
	;; [unrolled: 1-line block ×4, first 2 shown]
	v_pk_fma_f32 v[140:141], v[42:43], s[24:25], v[138:139] op_sel:[1,0,0] neg_lo:[1,0,0] neg_hi:[1,0,0]
	v_pk_mul_f32 v[142:143], v[38:39], s[46:47] op_sel_hi:[0,1]
	s_mov_b32 s26, s48
	s_mov_b32 s27, s13
	v_pk_add_f32 v[124:125], v[136:137], v[124:125]
	v_pk_fma_f32 v[144:145], v[40:41], s[26:27], v[142:143] op_sel:[1,0,0] neg_lo:[1,0,0] neg_hi:[1,0,0]
	v_pk_add_f32 v[124:125], v[140:141], v[124:125]
	v_mul_f32_e32 v12, 0x3f6eb680, v0
	v_mul_f32_e32 v26, 0x3eb8f4ab, v29
	v_pk_add_f32 v[124:125], v[144:145], v[124:125]
	v_pk_add_f32 v[136:137], v[12:13], v[26:27] neg_lo:[0,1] neg_hi:[0,1]
	ds_write2_b32 v8, v124, v125 offset0:6 offset1:7
	v_mul_f32_e32 v124, 0xbf06c442, v31
	v_pk_add_f32 v[140:141], v[12:13], v[26:27]
	v_mul_f32_e32 v12, 0xbf59a7d5, v80
	v_pk_add_f32 v[80:81], v[12:13], v[124:125] neg_lo:[0,1] neg_hi:[0,1]
	v_mul_f32_e32 v26, 0x3f2c7751, v33
	v_pk_add_f32 v[124:125], v[12:13], v[124:125]
	v_mul_f32_e32 v12, 0x3f3d2fb0, v82
	v_mov_b32_e32 v137, v140
	v_pk_add_f32 v[82:83], v[12:13], v[26:27] neg_lo:[0,1] neg_hi:[0,1]
	v_mov_b32_e32 v81, v124
	v_mul_f32_e32 v124, 0xbf4c4adb, v61
	v_pk_add_f32 v[140:141], v[12:13], v[26:27]
	v_mul_f32_e32 v12, 0xbf1a4643, v84
	v_pk_add_f32 v[84:85], v[12:13], v[124:125] neg_lo:[0,1] neg_hi:[0,1]
	v_mul_f32_e32 v26, 0x3f65296c, v65
	v_pk_add_f32 v[124:125], v[12:13], v[124:125]
	v_mul_f32_e32 v12, 0x3ee437d1, v86
	v_mov_b32_e32 v83, v140
	v_pk_add_f32 v[86:87], v[12:13], v[26:27] neg_lo:[0,1] neg_hi:[0,1]
	v_mov_b32_e32 v85, v124
	v_mul_f32_e32 v124, 0xbe8c1d8e, v36
	v_pk_add_f32 v[140:141], v[12:13], v[26:27]
	v_mul_f32_e32 v12, 0xbf763a35, v43
	v_mov_b32_e32 v87, v140
	v_pk_add_f32 v[140:141], v[124:125], v[12:13] neg_lo:[0,1] neg_hi:[0,1]
	v_pk_add_f32 v[124:125], v[124:125], v[12:13]
	v_mul_f32_e32 v12, 0x3dbcf732, v38
	v_mul_f32_e32 v26, 0x3f7ee86f, v41
	v_mov_b32_e32 v141, v124
	v_pk_add_f32 v[124:125], v[12:13], v[26:27] neg_lo:[0,1] neg_hi:[0,1]
	v_pk_add_f32 v[144:145], v[12:13], v[26:27]
	v_mul_f32_e32 v12, 0xbe3c28d5, v73
	v_mul_f32_e32 v26, 0xbf7ba420, v79
	v_mov_b32_e32 v125, v144
	v_pk_add_f32 v[144:145], v[26:27], v[12:13] neg_lo:[0,1] neg_hi:[0,1]
	v_pk_add_f32 v[146:147], v[26:27], v[12:13]
	v_add_f32_e32 v12, v59, v58
	v_mov_b32_e32 v145, v146
	v_pk_add_f32 v[144:145], v[144:145], v[2:3] op_sel_hi:[1,0]
	v_pk_mul_f32 v[58:59], v[56:57], v[78:79]
	v_pk_add_f32 v[136:137], v[136:137], v[144:145]
	v_fmac_f32_e32 v59, 0xbeb8f4ab, v73
	v_pk_add_f32 v[80:81], v[80:81], v[136:137]
	v_add_f32_e32 v56, v59, v2
	v_pk_add_f32 v[80:81], v[82:83], v[80:81]
	v_pk_fma_f32 v[82:83], v[72:73], s[80:81], v[122:123] op_sel:[1,0,0]
	v_pk_add_f32 v[80:81], v[84:85], v[80:81]
	v_pk_add_f32 v[82:83], v[82:83], v[2:3] op_sel_hi:[1,0]
	v_pk_add_f32 v[80:81], v[86:87], v[80:81]
	v_add_f32_e32 v23, v63, v62
	v_pk_add_f32 v[80:81], v[140:141], v[80:81]
	v_add_f32_e32 v12, v12, v56
	v_pk_add_f32 v[80:81], v[124:125], v[80:81]
	ds_write2_b32 v8, v80, v81 offset0:8 offset1:9
	v_pk_fma_f32 v[80:81], v[28:29], s[84:85], v[126:127] op_sel:[1,0,0]
	v_pk_fma_f32 v[84:85], v[72:73], s[40:41], v[108:109] op_sel:[1,0,0]
	v_pk_add_f32 v[80:81], v[80:81], v[82:83]
	v_pk_fma_f32 v[82:83], v[30:31], s[2:3], v[128:129] op_sel:[1,0,0]
	v_add_f32_e32 v26, v67, v66
	v_pk_add_f32 v[80:81], v[82:83], v[80:81]
	v_pk_fma_f32 v[82:83], v[32:33], s[8:9], v[130:131] op_sel:[1,0,0]
	v_add_f32_e32 v12, v23, v12
	v_pk_add_f32 v[80:81], v[82:83], v[80:81]
	v_pk_fma_f32 v[82:83], v[60:61], s[0:1], v[132:133] op_sel:[1,0,0]
	v_pk_add_f32 v[84:85], v[84:85], v[2:3] op_sel_hi:[1,0]
	v_pk_add_f32 v[80:81], v[82:83], v[80:81]
	v_pk_fma_f32 v[82:83], v[64:65], s[20:21], v[134:135] op_sel:[1,0,0]
	v_add_f32_e32 v62, v69, v68
	v_pk_add_f32 v[80:81], v[82:83], v[80:81]
	v_pk_fma_f32 v[82:83], v[42:43], s[24:25], v[138:139] op_sel:[1,0,0]
	v_add_f32_e32 v12, v26, v12
	;; [unrolled: 3-line block ×5, first 2 shown]
	v_pk_add_f32 v[82:83], v[84:85], v[82:83]
	v_add_f32_e32 v23, v63, v12
	v_pk_fma_f32 v[58:59], v[32:33], s[82:83], v[104:105] op_sel:[1,0,0]
	v_add_f32_e32 v67, v77, v76
	v_add_f32_e32 v23, v66, v23
	v_pk_fma_f32 v[62:63], v[60:61], s[86:87], v[106:107] op_sel:[1,0,0]
	v_pk_add_f32 v[58:59], v[58:59], v[82:83]
	v_add_f32_e32 v74, v67, v23
	v_pk_fma_f32 v[66:67], v[64:65], s[90:91], v[110:111] op_sel:[1,0,0]
	v_pk_add_f32 v[58:59], v[62:63], v[58:59]
	v_pk_fma_f32 v[68:69], v[42:43], s[92:93], v[114:115] op_sel:[1,0,0]
	v_pk_add_f32 v[58:59], v[66:67], v[58:59]
	v_pk_fma_f32 v[66:67], v[72:73], s[70:71], v[88:89] op_sel:[1,0,0]
	v_pk_fma_f32 v[28:29], v[28:29], s[38:39], v[90:91] op_sel:[1,0,0]
	v_pk_add_f32 v[66:67], v[66:67], v[2:3] op_sel_hi:[1,0]
	v_pk_fma_f32 v[70:71], v[40:41], s[94:95], v[118:119] op_sel:[1,0,0]
	v_pk_add_f32 v[58:59], v[68:69], v[58:59]
	v_pk_fma_f32 v[30:31], v[30:31], s[74:75], v[92:93] op_sel:[1,0,0]
	v_pk_add_f32 v[28:29], v[28:29], v[66:67]
	v_pk_add_f32 v[58:59], v[70:71], v[58:59]
	v_pk_fma_f32 v[32:33], v[32:33], s[78:79], v[94:95] op_sel:[1,0,0]
	v_pk_add_f32 v[28:29], v[30:31], v[28:29]
	ds_write2_b32 v8, v59, v58 offset0:12 offset1:13
	v_pk_fma_f32 v[58:59], v[60:61], s[36:37], v[96:97] op_sel:[1,0,0]
	v_pk_add_f32 v[28:29], v[32:33], v[28:29]
	v_pk_fma_f32 v[60:61], v[64:65], s[50:51], v[98:99] op_sel:[1,0,0]
	v_pk_add_f32 v[28:29], v[58:59], v[28:29]
	;; [unrolled: 2-line block ×4, first 2 shown]
	v_lshlrev_b32_e32 v12, 6, v22
	v_pk_add_f32 v[28:29], v[64:65], v[28:29]
	v_sub_u32_e32 v23, v8, v12
	s_load_dwordx2 s[28:29], vcc, 0x0
	ds_write2_b32 v8, v81, v80 offset0:10 offset1:11
	ds_write2_b32 v8, v29, v28 offset0:14 offset1:15
	ds_write_b32 v8, v74 offset:64
	v_lshl_add_u32 v29, v22, 2, v10
	v_add_u32_e32 v12, 0x800, v23
	v_add_u32_e32 v82, 0xa00, v23
	;; [unrolled: 1-line block ×8, first 2 shown]
	s_waitcnt lgkmcnt(0)
	s_barrier
	ds_read2_b32 v[62:63], v12 offset0:66 offset1:134
	ds_read2_b32 v[66:67], v23 offset0:68 offset1:136
	;; [unrolled: 1-line block ×3, first 2 shown]
	v_lshl_add_u32 v31, v28, 2, v10
	ds_read2_b32 v[60:61], v83 offset0:82 offset1:150
	v_lshl_add_u32 v33, v30, 2, v10
	v_lshl_add_u32 v80, v32, 2, v10
	ds_read2_b32 v[64:65], v84 offset0:90 offset1:158
	v_lshl_add_u32 v81, v26, 2, v10
	ds_read_b32 v79, v29
	ds_read_b32 v77, v23 offset:816
	ds_read_b32 v78, v31
	ds_read_b32 v76, v33
	;; [unrolled: 1-line block ×4, first 2 shown]
	v_writelane_b32 v121, s28, 24
	v_cmp_gt_u32_e32 vcc, 34, v22
                                        ; implicit-def: $vgpr72
	s_nop 0
	v_writelane_b32 v121, s29, 25
	s_and_saveexec_b64 s[28:29], vcc
	s_cbranch_execz .LBB0_14
; %bb.13:
	ds_read_b32 v74, v23 offset:2176
	ds_read_b32 v72, v23 offset:4488
.LBB0_14:
	s_or_b64 exec, exec, s[28:29]
	v_add_f32_e32 v10, v45, v3
	v_add_f32_e32 v10, v51, v10
	;; [unrolled: 1-line block ×4, first 2 shown]
	v_mov_b32_e32 v68, v55
	v_mov_b32_e32 v55, v52
	;; [unrolled: 1-line block ×7, first 2 shown]
	v_pk_add_f32 v[54:55], v[54:55], v[70:71] neg_lo:[0,1] neg_hi:[0,1]
	v_pk_add_f32 v[52:53], v[68:69], v[52:53]
	v_mov_b32_e32 v69, v54
	v_mov_b32_e32 v68, v52
	s_mov_b32 s28, s37
	s_mov_b32 s29, s23
	v_pk_mul_f32 v[86:87], v[68:69], s[88:89]
	v_pk_mul_f32 v[70:71], v[54:55], s[28:29]
	v_mov_b32_e32 v51, v86
	s_mov_b32 s28, s16
	s_mov_b32 s29, s22
	v_pk_fma_f32 v[88:89], v[68:69], s[88:89], v[50:51]
	v_pk_fma_f32 v[90:91], v[52:53], s[28:29], v[70:71]
	v_pk_fma_f32 v[92:93], v[52:53], s[28:29], v[70:71] neg_lo:[0,0,1] neg_hi:[0,0,1]
	v_mov_b32_e32 v68, v48
	v_mov_b32_e32 v69, v46
	;; [unrolled: 1-line block ×4, first 2 shown]
	v_pk_add_f32 v[68:69], v[68:69], v[70:71] neg_lo:[0,1] neg_hi:[0,1]
	v_mov_b32_e32 v70, v53
	v_mov_b32_e32 v71, v55
	v_pk_mul_f32 v[96:97], v[70:71], s[42:43]
	v_mov_b32_e32 v100, v35
	v_mov_b32_e32 v51, v96
	v_pk_fma_f32 v[98:99], v[70:71], s[42:43], v[50:51]
	v_mov_b32_e32 v70, v49
	v_mov_b32_e32 v71, v47
	;; [unrolled: 1-line block ×3, first 2 shown]
	v_pk_add_f32 v[70:71], v[70:71], v[100:101]
	v_mov_b32_e32 v101, v68
	v_mov_b32_e32 v100, v70
	v_pk_mul_f32 v[102:103], v[100:101], s[66:67]
	v_mov_b32_e32 v106, v4
	v_mov_b32_e32 v51, v102
	v_pk_fma_f32 v[100:101], v[100:101], s[66:67], v[50:51]
	v_mov_b32_e32 v51, v44
	v_mov_b32_e32 v107, v6
	v_pk_add_f32 v[50:51], v[50:51], v[106:107] neg_lo:[0,1] neg_hi:[0,1]
	v_mov_b32_e32 v106, v1
	v_mov_b32_e32 v107, v50
	v_pk_mul_f32 v[108:109], v[106:107], s[16:17]
	v_add_f32_e32 v44, v47, v10
	v_mov_b32_e32 v85, v108
	v_mov_b32_e32 v46, v49
	;; [unrolled: 1-line block ×4, first 2 shown]
	v_pk_fma_f32 v[106:107], v[106:107], s[16:17], v[84:85]
	s_mov_b32 s16, s52
	s_mov_b32 s17, s19
	v_pk_add_f32 v[44:45], v[46:47], v[44:45]
	v_mov_b32_e32 v48, v37
	v_mov_b32_e32 v49, v42
	v_pk_mul_f32 v[110:111], v[50:51], s[16:17]
	v_mov_b32_e32 v46, v1
	v_mov_b32_e32 v47, v45
	s_mov_b32 s16, s35
	s_mov_b32 s17, s18
	v_pk_mul_f32 v[114:115], v[48:49], s[22:23]
	v_pk_fma_f32 v[112:113], v[46:47], s[16:17], v[110:111]
	v_pk_fma_f32 v[110:111], v[46:47], s[16:17], v[110:111] neg_lo:[0,0,1] neg_hi:[0,0,1]
	v_mov_b32_e32 v47, v114
	v_pk_fma_f32 v[116:117], v[48:49], s[22:23], v[46:47]
	v_mov_b32_e32 v46, v71
	v_mov_b32_e32 v47, v69
	;; [unrolled: 1-line block ×3, first 2 shown]
	v_pk_mul_f32 v[118:119], v[46:47], s[12:13]
	v_pk_mul_f32 v[124:125], v[48:49], s[12:13]
	v_sub_f32_e32 v6, v86, v87
	v_pk_add_f32 v[86:87], v[56:57], v[44:45]
	v_pk_mul_f32 v[56:57], v[56:57], v[44:45]
	v_mov_b32_e32 v85, v118
	v_mov_b32_e32 v4, v125
	;; [unrolled: 1-line block ×4, first 2 shown]
	v_mul_f32_e32 v15, 0xbeb8f4ab, v51
	v_mov_b32_e32 v14, v9
	v_pk_fma_f32 v[122:123], v[46:47], s[12:13], v[84:85]
	v_pk_fma_f32 v[46:47], v[48:49], s[12:13], v[4:5]
	v_sub_f32_e32 v4, v96, v97
	v_mov_b32_e32 v96, v27
	v_mov_b32_e32 v97, v3
	v_pk_add_f32 v[14:15], v[14:15], v[86:87]
	v_mov_b32_e32 v106, v11
	v_pk_add_f32 v[14:15], v[96:97], v[14:15]
	;; [unrolled: 2-line block ×3, first 2 shown]
	v_fmac_f32_e32 v57, 0x3eb8f4ab, v51
	v_mov_b32_e32 v85, v124
	v_mov_b32_e32 v124, v39
	;; [unrolled: 1-line block ×3, first 2 shown]
	v_sub_f32_e32 v13, v108, v109
	v_pk_add_f32 v[10:11], v[98:99], v[10:11]
	v_add_f32_e32 v9, v57, v3
	v_add_f32_e32 v14, v113, v3
	s_mov_b32 s28, s48
	s_mov_b32 s29, s67
	v_pk_mul_f32 v[126:127], v[124:125], s[18:19]
	v_mov_b32_e32 v122, v19
	v_pk_add_f32 v[10:11], v[88:89], v[10:11]
	v_add_f32_e32 v9, v13, v9
	v_add_f32_e32 v13, v112, v14
	v_pk_mul_f32 v[94:95], v[68:69], s[28:29]
	s_mov_b32 s43, s66
	v_pk_fma_f32 v[48:49], v[48:49], s[12:13], v[84:85] neg_lo:[1,0,0] neg_hi:[1,0,0]
	v_mov_b32_e32 v85, v126
	v_mov_b32_e32 v100, v17
	v_pk_add_f32 v[10:11], v[122:123], v[10:11]
	v_add_f32_e32 v15, v111, v3
	v_add_f32_e32 v4, v4, v9
	v_add_f32_e32 v9, v91, v13
	v_readlane_b32 s16, v121, 10
	v_pk_fma_f32 v[104:105], v[70:71], s[42:43], v[94:95]
	v_pk_fma_f32 v[124:125], v[124:125], s[18:19], v[84:85]
	v_pk_mul_f32 v[128:129], v[50:51], s[70:71] op_sel:[1,0]
	v_sub_f32_e32 v16, v118, v119
	v_pk_add_f32 v[10:11], v[100:101], v[10:11]
	v_add_f32_e32 v14, v110, v15
	v_add_f32_e32 v4, v6, v4
	;; [unrolled: 1-line block ×3, first 2 shown]
	v_mov_b32_e32 v116, v5
	v_readlane_b32 s12, v121, 12
	v_readlane_b32 s17, v121, 11
	v_pk_mul_f32 v[130:131], v[50:51], s[38:39] op_sel_hi:[0,1]
	v_sub_f32_e32 v18, v102, v103
	v_add_f32_e32 v13, v93, v14
	v_add_f32_e32 v4, v16, v4
	;; [unrolled: 1-line block ×3, first 2 shown]
	v_pk_add_f32 v[10:11], v[116:117], v[10:11]
	v_mov_b32_e32 v124, v7
	v_readlane_b32 s13, v121, 13
	v_readlane_b32 s18, v121, 14
	v_pk_fma_f32 v[90:91], v[44:45], s[16:17], v[128:129] op_sel:[1,0,0]
	v_pk_mul_f32 v[132:133], v[54:55], s[74:75] op_sel:[1,0]
	v_add_f32_e32 v9, v92, v13
	v_add_f32_e32 v13, v18, v4
	;; [unrolled: 1-line block ×3, first 2 shown]
	v_pk_add_f32 v[6:7], v[124:125], v[10:11]
	v_pk_fma_f32 v[10:11], v[0:1], s[12:13], v[130:131] op_sel:[1,0,0]
	v_readlane_b32 s19, v121, 15
	v_readlane_b32 s22, v121, 16
	v_pk_add_f32 v[90:91], v[90:91], v[2:3] op_sel:[0,1]
	v_pk_mul_f32 v[134:135], v[54:55], s[78:79] op_sel_hi:[0,1]
	v_pk_fma_f32 v[16:17], v[52:53], s[18:19], v[132:133] op_sel:[1,0,0]
	v_readlane_b32 s23, v121, 17
	v_readlane_b32 s28, v121, 18
	v_pk_add_f32 v[10:11], v[10:11], v[90:91]
	v_pk_fma_f32 v[18:19], v[52:53], s[22:23], v[134:135] op_sel_hi:[0,1,1]
	v_pk_mul_f32 v[34:35], v[68:69], s[36:37] op_sel:[1,0]
	v_readlane_b32 s29, v121, 19
	v_pk_add_f32 v[10:11], v[16:17], v[10:11]
	v_pk_mul_f32 v[86:87], v[68:69], s[50:51] op_sel_hi:[0,1]
	v_pk_fma_f32 v[56:57], v[70:71], s[28:29], v[34:35] op_sel:[1,0,0]
	v_pk_add_f32 v[10:11], v[18:19], v[10:11]
	v_pk_fma_f32 v[88:89], v[70:71], s[34:35], v[86:87] op_sel_hi:[0,1,1]
	v_pk_add_f32 v[10:11], v[56:57], v[10:11]
	v_pk_mul_f32 v[16:17], v[42:43], s[48:49] op_sel_hi:[0,1]
	v_pk_add_f32 v[10:11], v[88:89], v[10:11]
	v_pk_fma_f32 v[18:19], v[36:37], s[30:31], v[16:17] op_sel:[1,0,0]
	v_readlane_b32 s36, v121, 20
	v_pk_add_f32 v[10:11], v[18:19], v[10:11]
	v_pk_mul_f32 v[18:19], v[40:41], s[52:53] op_sel_hi:[0,1]
	v_readlane_b32 s37, v121, 21
	v_pk_fma_f32 v[92:93], v[44:45], s[16:17], v[128:129] op_sel:[1,0,0] neg_lo:[0,0,1] neg_hi:[0,0,1]
	v_pk_fma_f32 v[88:89], v[52:53], s[18:19], v[132:133] op_sel:[1,0,0] neg_lo:[0,0,1] neg_hi:[0,0,1]
	v_pk_fma_f32 v[56:57], v[38:39], s[36:37], v[18:19] op_sel:[1,0,0]
	v_pk_add_f32 v[92:93], v[92:93], v[2:3] op_sel:[0,1]
	v_pk_add_f32 v[10:11], v[56:57], v[10:11]
	v_pk_fma_f32 v[56:57], v[0:1], s[12:13], v[130:131] op_sel:[1,0,0] neg_lo:[0,0,1] neg_hi:[0,0,1]
	v_pk_fma_f32 v[90:91], v[52:53], s[22:23], v[134:135] op_sel_hi:[0,1,1] neg_lo:[0,0,1] neg_hi:[0,0,1]
	v_pk_add_f32 v[56:57], v[56:57], v[92:93]
	v_pk_fma_f32 v[34:35], v[70:71], s[28:29], v[34:35] op_sel:[1,0,0] neg_lo:[0,0,1] neg_hi:[0,0,1]
	v_pk_add_f32 v[56:57], v[88:89], v[56:57]
	v_pk_fma_f32 v[86:87], v[70:71], s[34:35], v[86:87] op_sel_hi:[0,1,1] neg_lo:[0,0,1] neg_hi:[0,0,1]
	v_pk_add_f32 v[56:57], v[90:91], v[56:57]
	v_pk_fma_f32 v[16:17], v[36:37], s[30:31], v[16:17] op_sel:[1,0,0] neg_lo:[0,0,1] neg_hi:[0,0,1]
	v_pk_add_f32 v[34:35], v[34:35], v[56:57]
	v_pk_fma_f32 v[18:19], v[38:39], s[36:37], v[18:19] op_sel:[1,0,0] neg_lo:[0,0,1] neg_hi:[0,0,1]
	v_pk_add_f32 v[34:35], v[86:87], v[34:35]
	v_readlane_b32 s12, v121, 22
	v_pk_add_f32 v[16:17], v[16:17], v[34:35]
	v_pk_mul_f32 v[34:35], v[50:51], s[44:45] op_sel_hi:[0,1]
	v_pk_add_f32 v[16:17], v[18:19], v[16:17]
	v_pk_mul_f32 v[18:19], v[50:51], s[40:41] op_sel:[1,0]
	v_readlane_b32 s13, v121, 23
	v_pk_fma_f32 v[102:103], v[44:45], s[54:55], v[18:19] op_sel:[1,0,0]
	v_pk_fma_f32 v[94:95], v[70:71], s[42:43], v[94:95] neg_lo:[0,0,1] neg_hi:[0,0,1]
	v_pk_fma_f32 v[56:57], v[0:1], s[12:13], v[34:35] op_sel:[1,0,0]
	v_pk_mul_f32 v[86:87], v[54:55], s[76:77] op_sel:[1,0]
	v_pk_add_f32 v[102:103], v[102:103], v[2:3] op_sel:[0,1]
	v_add_f32_e32 v9, v95, v9
	v_pk_fma_f32 v[88:89], v[52:53], s[56:57], v[86:87] op_sel:[1,0,0]
	v_pk_mul_f32 v[90:91], v[54:55], s[82:83] op_sel_hi:[0,1]
	v_pk_add_f32 v[56:57], v[56:57], v[102:103]
	v_add_f32_e32 v15, v94, v9
	v_pk_fma_f32 v[92:93], v[52:53], s[58:59], v[90:91] op_sel_hi:[0,1,1]
	v_pk_mul_f32 v[94:95], v[68:69], s[86:87] op_sel:[1,0]
	v_pk_add_f32 v[56:57], v[88:89], v[56:57]
	v_pk_fma_f32 v[96:97], v[70:71], s[62:63], v[94:95] op_sel:[1,0,0]
	v_pk_mul_f32 v[98:99], v[68:69], s[90:91] op_sel_hi:[0,1]
	v_pk_add_f32 v[56:57], v[92:93], v[56:57]
	v_pk_fma_f32 v[18:19], v[44:45], s[54:55], v[18:19] op_sel:[1,0,0] neg_lo:[0,0,1] neg_hi:[0,0,1]
	v_pk_fma_f32 v[100:101], v[70:71], s[68:69], v[98:99] op_sel_hi:[0,1,1]
	v_pk_add_f32 v[56:57], v[96:97], v[56:57]
	v_pk_mul_f32 v[88:89], v[42:43], s[92:93] op_sel_hi:[0,1]
	v_pk_fma_f32 v[34:35], v[0:1], s[12:13], v[34:35] op_sel:[1,0,0] neg_lo:[0,0,1] neg_hi:[0,0,1]
	v_pk_add_f32 v[18:19], v[18:19], v[2:3] op_sel:[0,1]
	v_pk_add_f32 v[56:57], v[100:101], v[56:57]
	v_pk_fma_f32 v[92:93], v[36:37], s[64:65], v[88:89] op_sel:[1,0,0]
	v_pk_fma_f32 v[86:87], v[52:53], s[56:57], v[86:87] op_sel:[1,0,0] neg_lo:[0,0,1] neg_hi:[0,0,1]
	v_pk_add_f32 v[18:19], v[34:35], v[18:19]
	v_pk_add_f32 v[56:57], v[92:93], v[56:57]
	v_pk_mul_f32 v[92:93], v[40:41], s[94:95] op_sel_hi:[0,1]
	v_pk_fma_f32 v[90:91], v[52:53], s[58:59], v[90:91] op_sel_hi:[0,1,1] neg_lo:[0,0,1] neg_hi:[0,0,1]
	v_pk_add_f32 v[18:19], v[86:87], v[18:19]
	v_pk_fma_f32 v[96:97], v[38:39], s[72:73], v[92:93] op_sel:[1,0,0]
	v_pk_fma_f32 v[94:95], v[70:71], s[62:63], v[94:95] op_sel:[1,0,0] neg_lo:[0,0,1] neg_hi:[0,0,1]
	v_pk_add_f32 v[18:19], v[90:91], v[18:19]
	v_pk_add_f32 v[56:57], v[96:97], v[56:57]
	v_pk_fma_f32 v[96:97], v[70:71], s[68:69], v[98:99] op_sel_hi:[0,1,1] neg_lo:[0,0,1] neg_hi:[0,0,1]
	v_pk_add_f32 v[18:19], v[94:95], v[18:19]
	v_pk_fma_f32 v[34:35], v[36:37], s[64:65], v[88:89] op_sel:[1,0,0] neg_lo:[0,0,1] neg_hi:[0,0,1]
	v_pk_add_f32 v[18:19], v[96:97], v[18:19]
	v_pk_mul_f32 v[88:89], v[54:55], s[2:3] op_sel:[1,0]
	v_pk_add_f32 v[18:19], v[34:35], v[18:19]
	v_pk_fma_f32 v[34:35], v[38:39], s[72:73], v[92:93] op_sel:[1,0,0] neg_lo:[0,0,1] neg_hi:[0,0,1]
	v_pk_fma_f32 v[90:91], v[52:53], s[98:99], v[88:89] op_sel:[1,0,0]
	v_pk_add_f32 v[18:19], v[34:35], v[18:19]
	v_pk_mul_f32 v[34:35], v[50:51], s[80:81] op_sel:[1,0]
	v_pk_mul_f32 v[50:51], v[50:51], s[84:85] op_sel_hi:[0,1]
	v_pk_fma_f32 v[100:101], v[44:45], s[96:97], v[34:35] op_sel:[1,0,0]
	v_pk_fma_f32 v[86:87], v[0:1], s[60:61], v[50:51] op_sel:[1,0,0]
	v_pk_add_f32 v[100:101], v[100:101], v[2:3] op_sel:[0,1]
	v_pk_fma_f32 v[34:35], v[44:45], s[96:97], v[34:35] op_sel:[1,0,0] neg_lo:[0,0,1] neg_hi:[0,0,1]
	v_pk_mul_f32 v[54:55], v[54:55], s[8:9] op_sel_hi:[0,1]
	v_pk_add_f32 v[86:87], v[86:87], v[100:101]
	v_pk_fma_f32 v[0:1], v[0:1], s[60:61], v[50:51] op_sel:[1,0,0] neg_lo:[0,0,1] neg_hi:[0,0,1]
	v_pk_add_f32 v[2:3], v[34:35], v[2:3] op_sel:[0,1]
	v_pk_fma_f32 v[92:93], v[52:53], s[10:11], v[54:55] op_sel_hi:[0,1,1]
	v_pk_mul_f32 v[94:95], v[68:69], s[0:1] op_sel:[1,0]
	v_pk_add_f32 v[86:87], v[90:91], v[86:87]
	v_pk_fma_f32 v[50:51], v[52:53], s[98:99], v[88:89] op_sel:[1,0,0] neg_lo:[0,0,1] neg_hi:[0,0,1]
	v_pk_add_f32 v[0:1], v[0:1], v[2:3]
	v_pk_fma_f32 v[96:97], v[70:71], s[6:7], v[94:95] op_sel:[1,0,0]
	v_pk_mul_f32 v[68:69], v[68:69], s[20:21] op_sel_hi:[0,1]
	v_pk_add_f32 v[86:87], v[92:93], v[86:87]
	v_pk_fma_f32 v[52:53], v[52:53], s[10:11], v[54:55] op_sel_hi:[0,1,1] neg_lo:[0,0,1] neg_hi:[0,0,1]
	v_pk_add_f32 v[0:1], v[50:51], v[0:1]
	v_pk_fma_f32 v[98:99], v[70:71], s[14:15], v[68:69] op_sel_hi:[0,1,1]
	v_pk_add_f32 v[86:87], v[96:97], v[86:87]
	v_pk_mul_f32 v[42:43], v[42:43], s[24:25] op_sel_hi:[0,1]
	v_pk_fma_f32 v[54:55], v[70:71], s[6:7], v[94:95] op_sel:[1,0,0] neg_lo:[0,0,1] neg_hi:[0,0,1]
	v_pk_add_f32 v[0:1], v[52:53], v[0:1]
	v_pk_add_f32 v[86:87], v[98:99], v[86:87]
	v_pk_fma_f32 v[90:91], v[36:37], s[4:5], v[42:43] op_sel:[1,0,0]
	v_pk_fma_f32 v[68:69], v[70:71], s[14:15], v[68:69] op_sel_hi:[0,1,1] neg_lo:[0,0,1] neg_hi:[0,0,1]
	v_pk_add_f32 v[0:1], v[54:55], v[0:1]
	v_sub_f32_e32 v5, v114, v115
	v_pk_add_f32 v[86:87], v[90:91], v[86:87]
	v_pk_mul_f32 v[90:91], v[40:41], s[26:27] op_sel_hi:[0,1]
	v_pk_add_f32 v[0:1], v[68:69], v[0:1]
	v_pk_fma_f32 v[2:3], v[36:37], s[4:5], v[42:43] op_sel:[1,0,0] neg_lo:[0,0,1] neg_hi:[0,0,1]
	v_add_f32_e32 v5, v5, v13
	v_sub_f32_e32 v9, v126, v127
	v_pk_add_f32 v[0:1], v[2:3], v[0:1]
	v_pk_fma_f32 v[2:3], v[38:39], s[46:47], v[90:91] op_sel:[1,0,0] neg_lo:[0,0,1] neg_hi:[0,0,1]
	v_mul_f32_e32 v14, 0x3dbcf732, v39
	v_mul_f32_e32 v48, 0x3f7ee86f, v40
	v_add_f32_e32 v85, v9, v5
	v_pk_add_f32 v[0:1], v[2:3], v[0:1]
	v_pk_add_f32 v[2:3], v[14:15], v[48:49]
	v_mov_b32_e32 v5, v14
	v_mov_b32_e32 v14, v46
	;; [unrolled: 1-line block ×3, first 2 shown]
	v_pk_add_f32 v[34:35], v[4:5], v[46:47]
	v_pk_add_f32 v[4:5], v[4:5], v[14:15] neg_lo:[0,1] neg_hi:[0,1]
	v_pk_fma_f32 v[92:93], v[38:39], s[46:47], v[90:91] op_sel:[1,0,0]
	v_mov_b32_e32 v35, v5
	v_pk_add_f32 v[2:3], v[2:3], v[34:35]
	v_pk_add_f32 v[86:87], v[92:93], v[86:87]
	s_waitcnt lgkmcnt(0)
	s_barrier
	ds_write2_b32 v8, v6, v7 offset1:1
	ds_write2_b32 v8, v10, v11 offset0:2 offset1:3
	ds_write2_b32 v8, v56, v57 offset0:4 offset1:5
	;; [unrolled: 1-line block ×7, first 2 shown]
	ds_write_b32 v8, v85 offset:64
	s_waitcnt lgkmcnt(0)
	s_barrier
	ds_read2_b32 v[8:9], v12 offset0:66 offset1:134
	ds_read2_b32 v[0:1], v23 offset0:68 offset1:136
	;; [unrolled: 1-line block ×5, first 2 shown]
	ds_read_b32 v48, v29
	ds_read_b32 v47, v23 offset:816
	ds_read_b32 v46, v31
	ds_read_b32 v45, v33
	;; [unrolled: 1-line block ×4, first 2 shown]
                                        ; implicit-def: $vgpr49
	s_and_saveexec_b64 s[0:1], vcc
	s_cbranch_execz .LBB0_16
; %bb.15:
	ds_read_b32 v85, v23 offset:2176
	ds_read_b32 v49, v23 offset:4488
.LBB0_16:
	s_or_b64 exec, exec, s[0:1]
	s_movk_i32 s0, 0xf1
	v_add_u16_e32 v12, 0x44, v22
	v_mul_lo_u16_sdwa v13, v12, s0 dst_sel:DWORD dst_unused:UNUSED_PAD src0_sel:BYTE_0 src1_sel:DWORD
	v_lshrrev_b16_e32 v52, 12, v13
	v_mul_lo_u16_e32 v13, 17, v52
	v_sub_u16_e32 v53, v12, v13
	v_add_u16_e32 v12, 0x88, v22
	v_mul_lo_u16_sdwa v11, v22, s0 dst_sel:DWORD dst_unused:UNUSED_PAD src0_sel:BYTE_0 src1_sel:DWORD
	v_mul_lo_u16_sdwa v13, v12, s0 dst_sel:DWORD dst_unused:UNUSED_PAD src0_sel:BYTE_0 src1_sel:DWORD
	v_lshrrev_b16_e32 v50, 12, v11
	v_lshrrev_b16_e32 v54, 12, v13
	v_mul_lo_u16_e32 v11, 17, v50
	v_mul_lo_u16_e32 v13, 17, v54
	v_add_u32_e32 v10, 0xcc, v22
	v_sub_u16_e32 v51, v22, v11
	v_mov_b32_e32 v11, 3
	v_sub_u16_e32 v55, v12, v13
	s_mov_b32 s0, 0xf0f1
	v_lshlrev_b32_sdwa v18, v11, v51 dst_sel:DWORD dst_unused:UNUSED_PAD src0_sel:DWORD src1_sel:BYTE_0
	v_lshlrev_b32_sdwa v19, v11, v53 dst_sel:DWORD dst_unused:UNUSED_PAD src0_sel:DWORD src1_sel:BYTE_0
	;; [unrolled: 1-line block ×3, first 2 shown]
	v_mul_u32_u24_sdwa v11, v10, s0 dst_sel:DWORD dst_unused:UNUSED_PAD src0_sel:WORD_0 src1_sel:DWORD
	v_lshrrev_b32_e32 v56, 20, v11
	v_mul_lo_u16_e32 v11, 17, v56
	v_readlane_b32 s4, v121, 4
	v_sub_u16_e32 v57, v10, v11
	v_readlane_b32 s5, v121, 5
	v_lshlrev_b32_e32 v36, 3, v57
	s_nop 3
	global_load_dwordx2 v[16:17], v18, s[4:5]
	global_load_dwordx2 v[14:15], v19, s[4:5]
	;; [unrolled: 1-line block ×4, first 2 shown]
	v_mul_u32_u24_sdwa v18, v28, s0 dst_sel:DWORD dst_unused:UNUSED_PAD src0_sel:WORD_0 src1_sel:DWORD
	v_lshrrev_b32_e32 v68, 20, v18
	v_mul_lo_u16_e32 v18, 17, v68
	v_sub_u16_e32 v69, v28, v18
	v_mul_u32_u24_sdwa v18, v30, s0 dst_sel:DWORD dst_unused:UNUSED_PAD src0_sel:WORD_0 src1_sel:DWORD
	v_lshrrev_b32_e32 v70, 20, v18
	v_mul_lo_u16_e32 v18, 17, v70
	v_sub_u16_e32 v71, v30, v18
	;; [unrolled: 4-line block ×3, first 2 shown]
	v_mul_u32_u24_sdwa v18, v26, s0 dst_sel:DWORD dst_unused:UNUSED_PAD src0_sel:WORD_0 src1_sel:DWORD
	v_lshrrev_b32_e32 v86, 20, v18
	v_mul_lo_u16_e32 v18, 17, v86
	v_add_u32_e32 v27, 0x220, v22
	v_lshlrev_b32_e32 v34, 3, v69
	v_sub_u16_e32 v87, v26, v18
	v_lshlrev_b32_e32 v42, 3, v71
	v_lshlrev_b32_e32 v43, 3, v84
	;; [unrolled: 1-line block ×3, first 2 shown]
	global_load_dwordx2 v[40:41], v34, s[4:5]
	global_load_dwordx2 v[38:39], v42, s[4:5]
	;; [unrolled: 1-line block ×4, first 2 shown]
	v_mul_u32_u24_sdwa v34, v27, s0 dst_sel:DWORD dst_unused:UNUSED_PAD src0_sel:WORD_0 src1_sel:DWORD
	v_lshrrev_b32_e32 v88, 20, v34
	v_mul_lo_u16_e32 v34, 17, v88
	v_sub_u16_e32 v89, v27, v34
	v_lshlrev_b32_e32 v34, 3, v89
	global_load_dwordx2 v[42:43], v34, s[4:5]
	s_movk_i32 s0, 0x88
	v_mad_u32_u24 v50, v50, s0, 0
	s_mov_b32 s1, 0x5040100
	s_waitcnt lgkmcnt(0)
	s_barrier
	v_readlane_b32 s6, v121, 6
	v_readlane_b32 s7, v121, 7
	s_waitcnt vmcnt(8)
	v_mul_f32_e32 v34, v8, v17
	s_waitcnt vmcnt(7)
	v_mul_f32_e32 v82, v9, v15
	v_fma_f32 v34, v62, v16, -v34
	v_fma_f32 v82, v63, v14, -v82
	v_sub_f32_e32 v97, v79, v34
	v_sub_f32_e32 v98, v66, v82
	v_lshlrev_b32_e32 v82, 2, v120
	s_waitcnt vmcnt(6)
	v_mul_f32_e32 v90, v6, v13
	v_fma_f32 v90, v58, v12, -v90
	s_waitcnt vmcnt(5)
	v_mul_f32_e32 v91, v7, v11
	v_sub_f32_e32 v90, v67, v90
	v_fma_f32 v79, v79, 2.0, -v97
	v_fma_f32 v66, v66, 2.0, -v98
	v_fma_f32 v91, v59, v10, -v91
	v_fma_f32 v67, v67, 2.0, -v90
	v_sub_f32_e32 v91, v77, v91
	v_fma_f32 v77, v77, 2.0, -v91
	s_waitcnt vmcnt(4)
	v_mul_f32_e32 v92, v4, v41
	s_waitcnt vmcnt(3)
	v_mul_f32_e32 v93, v5, v39
	;; [unrolled: 2-line block ×4, first 2 shown]
	v_fma_f32 v92, v60, v40, -v92
	v_fma_f32 v93, v61, v38, -v93
	;; [unrolled: 1-line block ×4, first 2 shown]
	v_sub_f32_e32 v92, v78, v92
	s_waitcnt vmcnt(0)
	v_mul_f32_e32 v96, v49, v43
	v_fma_f32 v96, v72, v42, -v96
	v_sub_f32_e32 v34, v74, v96
	v_mov_b32_e32 v96, 2
	v_lshlrev_b32_sdwa v51, v96, v51 dst_sel:DWORD dst_unused:UNUSED_PAD src0_sel:DWORD src1_sel:BYTE_0
	v_add3_u32 v50, v50, v51, v82
	v_mad_u32_u24 v51, v52, s0, 0
	v_lshlrev_b32_sdwa v52, v96, v53 dst_sel:DWORD dst_unused:UNUSED_PAD src0_sel:DWORD src1_sel:BYTE_0
	v_add3_u32 v51, v51, v52, v82
	v_mad_u32_u24 v52, v54, s0, 0
	;; [unrolled: 3-line block ×3, first 2 shown]
	v_lshlrev_b32_e32 v54, 2, v57
	v_add3_u32 v53, v53, v54, v82
	v_perm_b32 v54, v70, v68, s1
	v_pk_mul_lo_u16 v55, v54, s0 op_sel_hi:[1,0]
	v_lshlrev_b32_e32 v56, 2, v69
	v_and_b32_e32 v54, 0xfff8, v55
	v_add_u32_e32 v54, 0, v54
	v_add3_u32 v54, v54, v56, v82
	v_mov_b32_e32 v56, 0
	v_add_u32_sdwa v55, v56, v55 dst_sel:DWORD dst_unused:UNUSED_PAD src0_sel:DWORD src1_sel:WORD_1
	v_lshlrev_b32_e32 v57, 2, v71
	v_add3_u32 v55, v55, v57, v82
	v_perm_b32 v57, v86, v83, s1
	v_pk_mul_lo_u16 v57, v57, s0 op_sel_hi:[1,0]
	ds_write2_b32 v50, v79, v97 offset1:17
	ds_write2_b32 v51, v66, v98 offset1:17
	v_and_b32_e32 v66, 0xfff8, v57
	v_sub_f32_e32 v93, v76, v93
	v_sub_f32_e32 v94, v75, v94
	;; [unrolled: 1-line block ×3, first 2 shown]
	ds_write2_b32 v52, v67, v90 offset1:17
	v_add_u32_e32 v66, 0, v66
	v_lshlrev_b32_e32 v67, 2, v84
	v_add_u32_sdwa v56, v56, v57 dst_sel:DWORD dst_unused:UNUSED_PAD src0_sel:DWORD src1_sel:WORD_1
	v_lshlrev_b32_e32 v57, 2, v87
	v_fma_f32 v78, v78, 2.0, -v92
	v_fma_f32 v76, v76, 2.0, -v93
	v_fma_f32 v75, v75, 2.0, -v94
	v_fma_f32 v73, v73, 2.0, -v95
	v_add3_u32 v68, v66, v67, v82
	v_add3_u32 v69, v56, v57, v82
	v_mul_lo_u16_e32 v66, 34, v88
	v_lshl_add_u32 v67, v89, 2, 0
	ds_write2_b32 v53, v77, v91 offset1:17
	ds_write2_b32 v54, v78, v92 offset1:17
	ds_write2_b32 v55, v76, v93 offset1:17
	ds_write2_b32 v68, v75, v94 offset1:17
	ds_write2_b32 v69, v73, v95 offset1:17
	s_and_saveexec_b64 s[0:1], vcc
	s_cbranch_execz .LBB0_18
; %bb.17:
	v_lshlrev_b32_e32 v57, 2, v66
	v_fma_f32 v56, v74, 2.0, -v34
	v_add3_u32 v57, v67, v57, v82
	ds_write2_b32 v57, v56, v34 offset1:17
.LBB0_18:
	s_or_b64 exec, exec, s[0:1]
	v_mul_f32_e32 v17, v62, v17
	v_fmac_f32_e32 v17, v8, v16
	v_mul_f32_e32 v8, v63, v15
	v_fmac_f32_e32 v8, v9, v14
	v_mul_f32_e32 v9, v58, v13
	v_fmac_f32_e32 v9, v6, v12
	v_mul_f32_e32 v6, v59, v11
	v_fmac_f32_e32 v6, v7, v10
	v_mul_f32_e32 v7, v60, v41
	v_fmac_f32_e32 v7, v4, v40
	v_mul_f32_e32 v4, v61, v39
	v_fmac_f32_e32 v4, v5, v38
	v_mul_f32_e32 v5, v64, v37
	v_fmac_f32_e32 v5, v2, v36
	v_mul_f32_e32 v2, v65, v19
	v_fmac_f32_e32 v2, v3, v18
	v_mul_f32_e32 v3, v72, v43
	v_fmac_f32_e32 v3, v49, v42
	v_sub_f32_e32 v2, v35, v2
	v_sub_f32_e32 v36, v85, v3
	v_lshlrev_b32_e32 v3, 2, v22
	v_fma_f32 v37, v35, 2.0, -v2
	v_add3_u32 v35, 0, v3, v82
	v_sub_f32_e32 v12, v48, v17
	v_sub_f32_e32 v6, v47, v6
	;; [unrolled: 1-line block ×5, first 2 shown]
	v_add_u32_e32 v10, 0x800, v35
	v_add_u32_e32 v11, 0xc00, v35
	v_fma_f32 v13, v48, 2.0, -v12
	v_sub_f32_e32 v14, v0, v8
	v_sub_f32_e32 v15, v1, v9
	v_fma_f32 v16, v47, 2.0, -v6
	v_fma_f32 v17, v46, 2.0, -v7
	;; [unrolled: 1-line block ×4, first 2 shown]
	s_waitcnt lgkmcnt(0)
	s_barrier
	ds_read2_b32 v[8:9], v23 offset0:68 offset1:136
	ds_read2_b32 v[42:43], v10 offset0:32 offset1:100
	;; [unrolled: 1-line block ×5, first 2 shown]
	ds_read_b32 v48, v29
	ds_read_b32 v61, v23 offset:816
	ds_read_b32 v60, v31
	ds_read_b32 v73, v33
	;; [unrolled: 1-line block ×4, first 2 shown]
	ds_read_b32 v41, v35 offset:4352
	v_fma_f32 v0, v0, 2.0, -v14
	v_fma_f32 v1, v1, 2.0, -v15
	s_waitcnt lgkmcnt(0)
	s_barrier
	ds_write2_b32 v50, v13, v12 offset1:17
	ds_write2_b32 v51, v0, v14 offset1:17
	;; [unrolled: 1-line block ×8, first 2 shown]
	s_and_saveexec_b64 s[0:1], vcc
	s_cbranch_execz .LBB0_20
; %bb.19:
	v_lshlrev_b32_e32 v1, 2, v66
	v_fma_f32 v0, v85, 2.0, -v36
	v_add3_u32 v1, v67, v1, v82
	ds_write2_b32 v1, v0, v36 offset1:17
.LBB0_20:
	s_or_b64 exec, exec, s[0:1]
	v_subrev_u32_e32 v38, 34, v22
	v_cndmask_b32_e32 v39, v38, v22, vcc
	v_readlane_b32 s0, v121, 4
	v_lshlrev_b32_e32 v0, 4, v39
	v_mov_b32_e32 v1, 0
	v_readlane_b32 s1, v121, 5
	s_waitcnt lgkmcnt(0)
	s_barrier
	v_lshl_add_u64 v[54:55], v[0:1], 3, s[0:1]
	global_load_dwordx4 v[0:3], v[54:55], off offset:200
	global_load_dwordx4 v[4:7], v[54:55], off offset:216
	global_load_dwordx4 v[12:15], v[54:55], off offset:232
	global_load_dwordx4 v[84:87], v[54:55], off offset:248
	global_load_dwordx4 v[50:53], v[54:55], off offset:136
	global_load_dwordx4 v[88:91], v[54:55], off offset:152
	ds_read2_b32 v[58:59], v23 offset0:68 offset1:136
	ds_read2_b32 v[64:65], v10 offset0:32 offset1:100
	;; [unrolled: 1-line block ×5, first 2 shown]
	ds_read_b32 v37, v29
	ds_read_b32 v63, v23 offset:816
	ds_read_b32 v62, v31
	ds_read_b32 v75, v33
	;; [unrolled: 1-line block ×4, first 2 shown]
	ds_read_b32 v95, v35 offset:4352
	v_mov_b32_e32 v96, v9
	v_mov_b32_e32 v97, v8
	global_load_dwordx4 v[8:11], v[54:55], off offset:184
	global_load_dwordx4 v[16:19], v[54:55], off offset:168
	s_waitcnt lgkmcnt(11)
	v_mov_b32_e32 v54, v59
	v_mov_b32_e32 v55, v58
	s_waitcnt lgkmcnt(7)
	v_mov_b32_e32 v94, v71
	v_mov_b32_e32 v40, v47
	s_mov_b32 s0, 0xbf2c7751
	s_mov_b32 s8, 0x3f3d2fb0
	;; [unrolled: 1-line block ×12, first 2 shown]
	v_readlane_b32 s2, v121, 6
	v_readlane_b32 s3, v121, 7
	s_mov_b32 s2, 0xbf4c4adb
	s_mov_b32 s3, 0xbf763a35
	s_waitcnt lgkmcnt(0)
	s_barrier
	s_waitcnt vmcnt(7)
	v_mov_b32_e32 v79, v2
	s_waitcnt vmcnt(6)
	v_mov_b32_e32 v77, v6
	;; [unrolled: 2-line block ×5, first 2 shown]
	v_mov_b32_e32 v50, v53
	v_mov_b32_e32 v103, v86
	;; [unrolled: 1-line block ×7, first 2 shown]
	v_pk_mul_f32 v[52:53], v[54:55], v[50:51]
	v_pk_mul_f32 v[104:105], v[96:97], v[50:51]
	;; [unrolled: 1-line block ×3, first 2 shown]
	v_pk_fma_f32 v[50:51], v[96:97], v[100:101], v[52:53] neg_lo:[0,0,1] neg_hi:[0,0,1]
	v_pk_fma_f32 v[52:53], v[54:55], v[100:101], v[104:105]
	v_pk_fma_f32 v[54:55], v[40:41], v[102:103], v[86:87] neg_lo:[0,0,1] neg_hi:[0,0,1]
	v_mov_b32_e32 v40, v71
	v_mov_b32_e32 v94, v47
	v_pk_mul_f32 v[40:41], v[40:41], v[84:85]
	v_add_f32_e32 v47, v48, v51
	v_pk_fma_f32 v[40:41], v[94:95], v[58:59], v[40:41]
	v_pk_add_f32 v[84:85], v[50:51], v[54:55]
	v_pk_add_f32 v[58:59], v[52:53], v[40:41] neg_lo:[0,1] neg_hi:[0,1]
	v_add_f32_e32 v68, v47, v50
	v_pk_mul_f32 v[86:87], v[58:59], s[0:1]
	v_mul_f32_e32 v47, 0xbf2c7751, v59
	v_mul_f32_e32 v71, 0xbf65296c, v59
	v_mul_f32_e32 v83, 0xbf7ee86f, v59
	v_mul_f32_e32 v101, 0xbf763a35, v59
	v_mul_f32_e32 v103, 0xbf4c4adb, v59
	v_mul_f32_e32 v105, 0xbf06c442, v59
	v_mul_f32_e32 v59, 0xbe3c28d5, v59
	v_pk_fma_f32 v[94:95], v[84:85], s[8:9], v[86:87] neg_lo:[0,0,1] neg_hi:[0,0,1]
	v_pk_fma_f32 v[86:87], v[84:85], s[8:9], v[86:87]
	v_fma_f32 v96, v85, s8, -v47
	v_fmac_f32_e32 v47, 0x3f3d2fb0, v85
	v_fma_f32 v97, v85, s13, -v71
	v_fmac_f32_e32 v71, 0x3ee437d1, v85
	;; [unrolled: 2-line block ×7, first 2 shown]
	v_add_f32_e32 v95, v48, v95
	v_add_f32_e32 v87, v48, v87
	;; [unrolled: 1-line block ×16, first 2 shown]
	v_mul_f32_e32 v59, 0xbf7ee86f, v58
	v_fma_f32 v85, v84, s12, -v59
	v_fmac_f32_e32 v59, 0x3dbcf732, v84
	v_add_f32_e32 v108, v59, v47
	v_mul_f32_e32 v47, 0xbf4c4adb, v58
	v_fma_f32 v59, v84, s14, -v47
	v_fmac_f32_e32 v47, 0xbf1a4643, v84
	v_add_f32_e32 v109, v47, v71
	v_mul_f32_e32 v47, 0xbe3c28d5, v58
	v_add_f32_e32 v97, v59, v97
	v_fma_f32 v59, v84, s16, -v47
	v_fmac_f32_e32 v47, 0xbf7ba420, v84
	v_add_f32_e32 v83, v47, v83
	v_mul_f32_e32 v47, 0x3f06c442, v58
	v_add_f32_e32 v100, v59, v100
	;; [unrolled: 5-line block ×5, first 2 shown]
	v_fma_f32 v58, v84, s9, -v47
	s_waitcnt vmcnt(2)
	v_mov_b32_e32 v85, v88
	v_mov_b32_e32 v88, v91
	v_add_f32_e32 v106, v59, v106
	v_add_f32_e32 v107, v58, v107
	v_fmac_f32_e32 v47, 0x3f6eb680, v84
	v_mov_b32_e32 v84, v90
	v_pk_mul_f32 v[58:59], v[62:63], v[88:89]
	v_add_f32_e32 v94, v94, v95
	v_pk_fma_f32 v[58:59], v[60:61], v[84:85], v[58:59] neg_lo:[0,0,1] neg_hi:[0,0,1]
	v_pk_mul_f32 v[60:61], v[60:61], v[88:89]
	v_add_f32_e32 v95, v86, v87
	v_pk_fma_f32 v[60:61], v[62:63], v[84:85], v[60:61]
	v_mov_b32_e32 v85, v14
	v_mov_b32_e32 v86, v93
	;; [unrolled: 1-line block ×7, first 2 shown]
	v_pk_mul_f32 v[86:87], v[86:87], v[14:15]
	v_mov_b32_e32 v98, v13
	v_pk_fma_f32 v[62:63], v[62:63], v[84:85], v[86:87] neg_lo:[0,0,1] neg_hi:[0,0,1]
	v_mov_b32_e32 v85, v70
	v_mov_b32_e32 v70, v93
	;; [unrolled: 1-line block ×5, first 2 shown]
	v_pk_mul_f32 v[12:13], v[70:71], v[12:13]
	v_add_f32_e32 v48, v47, v48
	v_pk_fma_f32 v[46:47], v[84:85], v[98:99], v[12:13]
	v_add_f32_e32 v12, v68, v59
	v_pk_add_f32 v[14:15], v[60:61], v[46:47] neg_lo:[0,1] neg_hi:[0,1]
	v_add_f32_e32 v68, v12, v58
	v_pk_add_f32 v[12:13], v[58:59], v[62:63]
	v_pk_mul_f32 v[70:71], v[14:15], s[4:5]
	v_mul_f32_e32 v89, 0x3f763a35, v15
	v_pk_fma_f32 v[84:85], v[12:13], s[12:13], v[70:71] neg_lo:[0,0,1] neg_hi:[0,0,1]
	v_pk_fma_f32 v[70:71], v[12:13], s[12:13], v[70:71]
	v_mul_f32_e32 v87, 0x3e3c28d5, v15
	v_fma_f32 v90, v13, s15, -v89
	v_fmac_f32_e32 v89, 0xbe8c1d8e, v13
	v_add_f32_e32 v57, v85, v94
	v_add_f32_e32 v71, v71, v95
	v_mul_f32_e32 v85, 0xbf4c4adb, v15
	v_fma_f32 v88, v13, s16, -v87
	v_add_f32_e32 v83, v89, v83
	v_mul_f32_e32 v89, 0x3f2c7751, v15
	v_mul_f32_e32 v93, 0xbeb8f4ab, v15
	;; [unrolled: 1-line block ×4, first 2 shown]
	v_fma_f32 v86, v13, s14, -v85
	v_add_f32_e32 v88, v88, v97
	v_fma_f32 v97, v13, s17, -v15
	v_fmac_f32_e32 v15, 0xbf59a7d5, v13
	v_add_f32_e32 v86, v86, v96
	v_fmac_f32_e32 v85, 0xbf1a4643, v13
	v_fmac_f32_e32 v87, 0xbf7ba420, v13
	v_fma_f32 v91, v13, s8, -v89
	v_fmac_f32_e32 v89, 0x3f3d2fb0, v13
	v_fma_f32 v94, v13, s9, -v93
	;; [unrolled: 2-line block ×3, first 2 shown]
	v_fmac_f32_e32 v95, 0x3dbcf732, v13
	v_add_f32_e32 v13, v15, v48
	v_mul_f32_e32 v15, 0xbe3c28d5, v14
	v_add_f32_e32 v85, v85, v108
	v_add_f32_e32 v48, v84, v57
	v_fma_f32 v57, v12, s16, -v15
	v_fmac_f32_e32 v15, 0xbf7ba420, v12
	v_add_f32_e32 v85, v15, v85
	v_mul_f32_e32 v15, 0x3f763a35, v14
	v_add_f32_e32 v87, v87, v109
	v_add_f32_e32 v86, v57, v86
	v_fma_f32 v57, v12, s15, -v15
	v_fmac_f32_e32 v15, 0xbe8c1d8e, v12
	v_add_f32_e32 v87, v15, v87
	v_mul_f32_e32 v15, 0x3eb8f4ab, v14
	v_add_f32_e32 v88, v57, v88
	v_fma_f32 v57, v12, s9, -v15
	v_fmac_f32_e32 v15, 0x3f6eb680, v12
	v_add_f32_e32 v90, v90, v100
	v_add_f32_e32 v83, v15, v83
	v_mul_f32_e32 v15, 0xbf65296c, v14
	v_add_f32_e32 v89, v89, v101
	v_add_f32_e32 v90, v57, v90
	v_fma_f32 v57, v12, s13, -v15
	v_fmac_f32_e32 v15, 0x3ee437d1, v12
	v_add_f32_e32 v91, v91, v102
	v_add_f32_e32 v89, v15, v89
	v_mul_f32_e32 v15, 0xbf06c442, v14
	v_add_f32_e32 v93, v93, v103
	;; [unrolled: 7-line block ×3, first 2 shown]
	v_add_f32_e32 v94, v57, v94
	v_fma_f32 v57, v12, s14, -v15
	v_fmac_f32_e32 v15, 0xbf1a4643, v12
	v_mul_f32_e32 v14, 0x3f2c7751, v14
	v_add_f32_e32 v95, v15, v95
	v_fma_f32 v15, v12, s8, -v14
	v_fmac_f32_e32 v14, 0x3f3d2fb0, v12
	v_add_f32_e32 v97, v97, v107
	v_add_f32_e32 v98, v14, v13
	s_waitcnt vmcnt(0)
	v_mov_b32_e32 v13, v16
	v_mov_b32_e32 v16, v19
	v_add_f32_e32 v97, v15, v97
	v_mov_b32_e32 v12, v18
	v_pk_mul_f32 v[14:15], v[74:75], v[16:17]
	v_add_f32_e32 v84, v70, v71
	v_pk_fma_f32 v[70:71], v[72:73], v[12:13], v[14:15] neg_lo:[0,0,1] neg_hi:[0,0,1]
	v_pk_mul_f32 v[14:15], v[72:73], v[16:17]
	v_mov_b32_e32 v16, v67
	v_pk_fma_f32 v[72:73], v[74:75], v[12:13], v[14:15]
	v_mov_b32_e32 v15, v6
	v_mov_b32_e32 v17, v92
	;; [unrolled: 1-line block ×6, first 2 shown]
	v_pk_mul_f32 v[16:17], v[16:17], v[6:7]
	v_mov_b32_e32 v76, v5
	v_pk_fma_f32 v[74:75], v[12:13], v[14:15], v[16:17] neg_lo:[0,0,1] neg_hi:[0,0,1]
	v_mov_b32_e32 v14, v67
	v_mov_b32_e32 v15, v56
	;; [unrolled: 1-line block ×3, first 2 shown]
	v_add_f32_e32 v96, v96, v106
	v_mov_b32_e32 v13, v92
	v_pk_mul_f32 v[4:5], v[14:15], v[4:5]
	v_add_f32_e32 v96, v57, v96
	v_pk_fma_f32 v[56:57], v[12:13], v[76:77], v[4:5]
	v_add_f32_e32 v4, v68, v71
	v_pk_add_f32 v[6:7], v[72:73], v[56:57] neg_lo:[0,1] neg_hi:[0,1]
	v_add_f32_e32 v16, v4, v70
	v_pk_add_f32 v[4:5], v[70:71], v[74:75]
	v_pk_mul_f32 v[12:13], v[6:7], s[2:3]
	v_mul_f32_e32 v17, 0x3f06c442, v7
	v_pk_fma_f32 v[14:15], v[4:5], s[14:15], v[12:13] neg_lo:[0,0,1] neg_hi:[0,0,1]
	v_pk_fma_f32 v[12:13], v[4:5], s[14:15], v[12:13]
	v_add_f32_e32 v15, v15, v48
	v_add_f32_e32 v13, v13, v84
	v_fma_f32 v18, v5, s17, -v17
	v_mul_f32_e32 v19, 0x3f2c7751, v7
	v_mul_f32_e32 v48, 0xbf65296c, v7
	;; [unrolled: 1-line block ×6, first 2 shown]
	v_add_f32_e32 v18, v18, v86
	v_fmac_f32_e32 v17, 0xbf59a7d5, v5
	v_fma_f32 v67, v5, s13, -v48
	v_fmac_f32_e32 v48, 0x3ee437d1, v5
	v_fma_f32 v86, v5, s14, -v7
	v_fmac_f32_e32 v7, 0xbf1a4643, v5
	v_add_f32_e32 v17, v17, v85
	v_fma_f32 v45, v5, s8, -v19
	v_fmac_f32_e32 v19, 0x3f3d2fb0, v5
	v_add_f32_e32 v48, v48, v83
	v_fma_f32 v76, v5, s16, -v68
	v_fmac_f32_e32 v68, 0xbf7ba420, v5
	v_fma_f32 v83, v5, s12, -v77
	v_fmac_f32_e32 v77, 0x3dbcf732, v5
	;; [unrolled: 2-line block ×3, first 2 shown]
	v_add_f32_e32 v5, v7, v98
	v_mul_f32_e32 v7, 0x3f763a35, v6
	v_add_f32_e32 v12, v12, v13
	v_fma_f32 v13, v4, s15, -v7
	v_fmac_f32_e32 v7, 0xbe8c1d8e, v4
	v_add_f32_e32 v14, v14, v15
	v_add_f32_e32 v15, v7, v17
	v_mul_f32_e32 v7, 0xbeb8f4ab, v6
	v_add_f32_e32 v19, v19, v87
	v_fma_f32 v17, v4, s9, -v7
	v_fmac_f32_e32 v7, 0x3f6eb680, v4
	v_add_f32_e32 v13, v13, v18
	;; [unrolled: 6-line block ×4, first 2 shown]
	v_add_f32_e32 v76, v76, v91
	v_add_f32_e32 v87, v7, v68
	v_mul_f32_e32 v7, 0xbf2c7751, v6
	v_add_f32_e32 v77, v77, v93
	v_add_f32_e32 v19, v19, v67
	;; [unrolled: 1-line block ×3, first 2 shown]
	v_fma_f32 v48, v4, s8, -v7
	v_fmac_f32_e32 v7, 0x3f3d2fb0, v4
	v_add_f32_e32 v83, v83, v94
	v_add_f32_e32 v88, v7, v77
	v_mul_f32_e32 v7, 0xbe3c28d5, v6
	v_add_f32_e32 v84, v84, v95
	v_add_f32_e32 v83, v48, v83
	v_fma_f32 v48, v4, s16, -v7
	v_fmac_f32_e32 v7, 0xbf7ba420, v4
	v_mul_f32_e32 v6, 0x3f65296c, v6
	v_add_f32_e32 v84, v7, v84
	v_fma_f32 v7, v4, s13, -v6
	v_fmac_f32_e32 v6, 0x3ee437d1, v4
	v_add_f32_e32 v85, v85, v96
	v_add_f32_e32 v86, v86, v97
	;; [unrolled: 1-line block ×3, first 2 shown]
	v_mov_b32_e32 v5, v8
	v_mov_b32_e32 v68, v64
	;; [unrolled: 1-line block ×3, first 2 shown]
	v_add_f32_e32 v85, v48, v85
	v_add_f32_e32 v86, v7, v86
	v_mov_b32_e32 v48, v42
	v_mov_b32_e32 v4, v10
	v_pk_mul_f32 v[6:7], v[68:69], v[8:9]
	v_mov_b32_e32 v78, v1
	v_pk_fma_f32 v[76:77], v[48:49], v[4:5], v[6:7] neg_lo:[0,0,1] neg_hi:[0,0,1]
	v_pk_mul_f32 v[6:7], v[48:49], v[8:9]
	v_mov_b32_e32 v8, v65
	v_pk_fma_f32 v[48:49], v[68:69], v[4:5], v[6:7]
	v_mov_b32_e32 v7, v2
	v_mov_b32_e32 v9, v66
	;; [unrolled: 1-line block ×6, first 2 shown]
	v_pk_mul_f32 v[8:9], v[8:9], v[2:3]
	v_mov_b32_e32 v1, v3
	v_pk_fma_f32 v[68:69], v[4:5], v[6:7], v[8:9] neg_lo:[0,0,1] neg_hi:[0,0,1]
	v_mov_b32_e32 v6, v65
	v_mov_b32_e32 v7, v44
	;; [unrolled: 1-line block ×3, first 2 shown]
	v_pk_mul_f32 v[0:1], v[6:7], v[0:1]
	s_mov_b32 s0, 0xbe3c28d5
	v_pk_fma_f32 v[64:65], v[4:5], v[78:79], v[0:1]
	v_add_f32_e32 v0, v16, v77
	v_add_f32_e32 v0, v0, v76
	;; [unrolled: 1-line block ×8, first 2 shown]
	v_pk_add_f32 v[4:5], v[48:49], v[64:65] neg_lo:[0,1] neg_hi:[0,1]
	s_mov_b32 s1, 0xbf06c442
	v_add_f32_e32 v0, v0, v54
	v_pk_add_f32 v[2:3], v[76:77], v[68:69]
	v_mul_f32_e32 v9, 0x3f65296c, v5
	v_add_f32_e32 v8, v0, v55
	v_pk_mul_f32 v[0:1], v[4:5], s[0:1]
	v_fma_f32 v10, v3, s13, -v9
	v_pk_fma_f32 v[6:7], v[2:3], s[16:17], v[0:1] neg_lo:[0,0,1] neg_hi:[0,0,1]
	v_pk_fma_f32 v[0:1], v[2:3], s[16:17], v[0:1]
	v_add_f32_e32 v10, v10, v13
	v_mul_f32_e32 v11, 0xbf7ee86f, v5
	v_mul_f32_e32 v13, 0x3f4c4adb, v5
	v_add_f32_e32 v7, v7, v14
	v_add_f32_e32 v1, v1, v12
	v_fmac_f32_e32 v9, 0x3ee437d1, v3
	v_fma_f32 v12, v3, s12, -v11
	v_fma_f32 v14, v3, s14, -v13
	v_add_f32_e32 v9, v9, v15
	v_add_f32_e32 v12, v12, v17
	;; [unrolled: 1-line block ×3, first 2 shown]
	v_mul_f32_e32 v15, 0xbeb8f4ab, v5
	v_mul_f32_e32 v17, 0xbe3c28d5, v5
	;; [unrolled: 1-line block ×4, first 2 shown]
	v_fmac_f32_e32 v11, 0x3dbcf732, v3
	v_fma_f32 v43, v3, s15, -v5
	v_fmac_f32_e32 v5, 0xbe8c1d8e, v3
	v_add_f32_e32 v0, v0, v1
	v_mul_f32_e32 v1, 0x3eb8f4ab, v4
	v_add_f32_e32 v11, v11, v18
	v_fmac_f32_e32 v13, 0xbf1a4643, v3
	v_fma_f32 v16, v3, s9, -v15
	v_fmac_f32_e32 v15, 0x3f6eb680, v3
	v_fma_f32 v18, v3, s16, -v17
	;; [unrolled: 2-line block ×3, first 2 shown]
	v_fmac_f32_e32 v19, 0x3f3d2fb0, v3
	v_add_f32_e32 v3, v5, v89
	v_fma_f32 v5, v2, s9, -v1
	v_add_f32_e32 v6, v6, v7
	v_add_f32_e32 v7, v5, v10
	v_fmac_f32_e32 v1, 0x3f6eb680, v2
	v_mul_f32_e32 v5, 0xbf06c442, v4
	v_add_f32_e32 v1, v1, v9
	v_fma_f32 v9, v2, s17, -v5
	v_fmac_f32_e32 v5, 0xbf59a7d5, v2
	v_add_f32_e32 v10, v5, v11
	v_mul_f32_e32 v5, 0x3f2c7751, v4
	v_add_f32_e32 v13, v13, v45
	v_fma_f32 v11, v2, s8, -v5
	v_fmac_f32_e32 v5, 0x3f3d2fb0, v2
	v_add_f32_e32 v9, v9, v12
	v_add_f32_e32 v12, v5, v13
	v_mul_f32_e32 v5, 0xbf4c4adb, v4
	v_add_f32_e32 v15, v15, v87
	v_fma_f32 v13, v2, s14, -v5
	v_fmac_f32_e32 v5, 0xbf1a4643, v2
	v_add_f32_e32 v11, v11, v14
	v_add_f32_e32 v14, v5, v15
	v_mul_f32_e32 v5, 0x3f65296c, v4
	v_add_f32_e32 v16, v16, v67
	v_add_f32_e32 v17, v17, v88
	v_fma_f32 v15, v2, s13, -v5
	v_fmac_f32_e32 v5, 0x3ee437d1, v2
	v_add_f32_e32 v13, v13, v16
	v_add_f32_e32 v16, v5, v17
	v_mul_f32_e32 v5, 0xbf763a35, v4
	v_add_f32_e32 v18, v18, v83
	v_add_f32_e32 v19, v19, v84
	v_fma_f32 v17, v2, s15, -v5
	v_fmac_f32_e32 v5, 0xbe8c1d8e, v2
	v_mul_f32_e32 v4, 0x3f7ee86f, v4
	v_add_f32_e32 v15, v15, v18
	v_add_f32_e32 v18, v5, v19
	v_fma_f32 v5, v2, s12, -v4
	v_fmac_f32_e32 v4, 0x3dbcf732, v2
	v_add_f32_e32 v2, v4, v3
	v_mov_b32_e32 v3, 0x908
	v_cmp_lt_u32_e64 s[2:3], 33, v22
	v_add_f32_e32 v43, v43, v86
	v_lshlrev_b32_e32 v4, 2, v39
	v_cndmask_b32_e64 v3, 0, v3, s[2:3]
	v_add_u32_e32 v3, 0, v3
	v_add_f32_e32 v42, v42, v85
	v_add_f32_e32 v19, v5, v43
	v_add3_u32 v5, v3, v4, v82
	v_add_f32_e32 v17, v17, v42
	ds_write2_b32 v5, v8, v6 offset1:34
	ds_write2_b32 v5, v7, v9 offset0:68 offset1:102
	ds_write2_b32 v5, v11, v13 offset0:136 offset1:170
	;; [unrolled: 1-line block ×3, first 2 shown]
	v_add_u32_e32 v7, 0x400, v5
	ds_write2_b32 v7, v19, v2 offset0:16 offset1:50
	ds_write2_b32 v7, v18, v16 offset0:84 offset1:118
	;; [unrolled: 1-line block ×4, first 2 shown]
	ds_write_b32 v5, v0 offset:2176
	v_add_u32_e32 v1, 0x800, v23
	s_waitcnt lgkmcnt(0)
	s_barrier
	ds_read2_b32 v[42:43], v1 offset0:66 offset1:134
	ds_read2_b32 v[18:19], v23 offset0:68 offset1:136
	v_add_u32_e32 v11, 0xa00, v23
	v_add_u32_e32 v1, 0xc00, v23
	;; [unrolled: 1-line block ×3, first 2 shown]
	ds_read2_b32 v[14:15], v11 offset0:74 offset1:142
	ds_read2_b32 v[8:9], v1 offset0:82 offset1:150
	;; [unrolled: 1-line block ×3, first 2 shown]
	ds_read_b32 v44, v29
	ds_read_b32 v16, v23 offset:816
	ds_read_b32 v12, v31
	ds_read_b32 v10, v33
	;; [unrolled: 1-line block ×4, first 2 shown]
	s_and_saveexec_b64 s[0:1], vcc
	s_cbranch_execz .LBB0_22
; %bb.21:
	ds_read_b32 v0, v35 offset:2176
	ds_read_b32 v34, v23 offset:4488
.LBB0_22:
	s_or_b64 exec, exec, s[0:1]
	v_add_f32_e32 v1, v37, v53
	v_pk_add_f32 v[50:51], v[50:51], v[54:55] neg_lo:[0,1] neg_hi:[0,1]
	v_add_f32_e32 v1, v1, v52
	v_pk_add_f32 v[52:53], v[52:53], v[40:41]
	v_mul_f32_e32 v17, 0xbeb8f4ab, v51
	v_mul_f32_e32 v45, 0xbf2c7751, v51
	;; [unrolled: 1-line block ×8, first 2 shown]
	v_fmamk_f32 v39, v53, 0x3f6eb680, v17
	v_fma_f32 v17, v53, s9, -v17
	v_fmamk_f32 v54, v53, 0x3f3d2fb0, v45
	v_fma_f32 v45, v53, s8, -v45
	;; [unrolled: 2-line block ×8, first 2 shown]
	v_add_f32_e32 v39, v37, v39
	v_add_f32_e32 v17, v37, v17
	;; [unrolled: 1-line block ×16, first 2 shown]
	v_mul_f32_e32 v51, 0xbf2c7751, v50
	v_fmamk_f32 v53, v52, 0x3f3d2fb0, v51
	v_fma_f32 v51, v52, s8, -v51
	v_add_f32_e32 v17, v51, v17
	v_mul_f32_e32 v51, 0xbf7ee86f, v50
	v_add_f32_e32 v39, v53, v39
	v_fmamk_f32 v53, v52, 0x3dbcf732, v51
	v_fma_f32 v51, v52, s12, -v51
	v_add_f32_e32 v45, v51, v45
	v_mul_f32_e32 v51, 0xbf4c4adb, v50
	v_add_f32_e32 v54, v53, v54
	;; [unrolled: 5-line block ×6, first 2 shown]
	v_fmamk_f32 v53, v52, 0x3ee437d1, v51
	v_fma_f32 v51, v52, s13, -v51
	v_mul_f32_e32 v50, 0x3eb8f4ab, v50
	v_add_f32_e32 v86, v53, v86
	v_add_f32_e32 v85, v51, v85
	v_fmamk_f32 v51, v52, 0x3f6eb680, v50
	v_fma_f32 v50, v52, s9, -v50
	v_pk_add_f32 v[52:53], v[58:59], v[62:63] neg_lo:[0,1] neg_hi:[0,1]
	v_add_f32_e32 v87, v51, v87
	v_add_f32_e32 v37, v50, v37
	v_pk_add_f32 v[50:51], v[60:61], v[46:47]
	v_mul_f32_e32 v58, 0xbf65296c, v53
	v_fmamk_f32 v59, v51, 0x3ee437d1, v58
	v_fma_f32 v58, v51, s13, -v58
	v_add_f32_e32 v17, v58, v17
	v_mul_f32_e32 v58, 0xbf4c4adb, v53
	v_add_f32_e32 v39, v59, v39
	v_fmamk_f32 v59, v51, 0xbf1a4643, v58
	v_fma_f32 v58, v51, s14, -v58
	v_add_f32_e32 v45, v58, v45
	v_mul_f32_e32 v58, 0x3e3c28d5, v53
	v_add_f32_e32 v54, v59, v54
	v_fmamk_f32 v59, v51, 0xbf7ba420, v58
	v_fma_f32 v58, v51, s16, -v58
	v_add_f32_e32 v1, v1, v61
	v_add_f32_e32 v55, v58, v55
	v_mul_f32_e32 v58, 0x3f763a35, v53
	v_add_f32_e32 v1, v1, v60
	v_fmamk_f32 v60, v51, 0xbe8c1d8e, v58
	v_fma_f32 v58, v51, s15, -v58
	v_mul_f32_e32 v61, 0x3f2c7751, v53
	v_add_f32_e32 v58, v58, v67
	v_fmamk_f32 v62, v51, 0x3f3d2fb0, v61
	v_fma_f32 v61, v51, s8, -v61
	v_mul_f32_e32 v63, 0xbeb8f4ab, v53
	v_mul_f32_e32 v67, 0xbf7ee86f, v53
	;; [unrolled: 1-line block ×3, first 2 shown]
	v_add_f32_e32 v59, v59, v66
	v_add_f32_e32 v60, v60, v78
	;; [unrolled: 1-line block ×3, first 2 shown]
	v_fmamk_f32 v66, v51, 0x3f6eb680, v63
	v_fma_f32 v63, v51, s9, -v63
	v_fmamk_f32 v78, v51, 0x3dbcf732, v67
	v_fma_f32 v67, v51, s12, -v67
	;; [unrolled: 2-line block ×3, first 2 shown]
	v_add_f32_e32 v37, v51, v37
	v_mul_f32_e32 v51, 0xbf7ee86f, v52
	v_fmamk_f32 v53, v50, 0x3dbcf732, v51
	v_fma_f32 v51, v50, s12, -v51
	v_add_f32_e32 v17, v51, v17
	v_mul_f32_e32 v51, 0xbe3c28d5, v52
	v_add_f32_e32 v39, v53, v39
	v_fmamk_f32 v53, v50, 0xbf7ba420, v51
	v_fma_f32 v51, v50, s16, -v51
	v_add_f32_e32 v45, v51, v45
	v_mul_f32_e32 v51, 0x3f763a35, v52
	v_add_f32_e32 v54, v53, v54
	;; [unrolled: 5-line block ×4, first 2 shown]
	v_fmamk_f32 v53, v50, 0x3ee437d1, v51
	v_fma_f32 v51, v50, s13, -v51
	v_add_f32_e32 v62, v62, v82
	v_add_f32_e32 v61, v51, v61
	v_mul_f32_e32 v51, 0xbf06c442, v52
	v_add_f32_e32 v63, v63, v83
	v_add_f32_e32 v62, v53, v62
	v_fmamk_f32 v53, v50, 0xbf59a7d5, v51
	v_fma_f32 v51, v50, s17, -v51
	v_add_f32_e32 v66, v66, v84
	v_add_f32_e32 v63, v51, v63
	v_mul_f32_e32 v51, 0x3f4c4adb, v52
	v_add_f32_e32 v67, v67, v85
	v_add_f32_e32 v66, v53, v66
	v_fmamk_f32 v53, v50, 0xbf1a4643, v51
	v_fma_f32 v51, v50, s14, -v51
	v_add_f32_e32 v67, v51, v67
	v_mul_f32_e32 v51, 0x3f2c7751, v52
	v_add_f32_e32 v78, v78, v86
	v_add_f32_e32 v79, v79, v87
	v_fmamk_f32 v52, v50, 0x3f3d2fb0, v51
	v_add_f32_e32 v78, v53, v78
	v_add_f32_e32 v79, v52, v79
	v_fma_f32 v50, v50, s8, -v51
	v_pk_add_f32 v[52:53], v[70:71], v[74:75] neg_lo:[0,1] neg_hi:[0,1]
	v_add_f32_e32 v37, v50, v37
	v_pk_add_f32 v[50:51], v[72:73], v[56:57]
	v_mul_f32_e32 v70, 0xbf763a35, v53
	v_fmamk_f32 v71, v51, 0xbe8c1d8e, v70
	v_fma_f32 v70, v51, s15, -v70
	v_add_f32_e32 v17, v70, v17
	v_mul_f32_e32 v70, 0x3f06c442, v53
	v_add_f32_e32 v39, v71, v39
	v_fmamk_f32 v71, v51, 0xbf59a7d5, v70
	v_fma_f32 v70, v51, s17, -v70
	v_add_f32_e32 v45, v70, v45
	v_mul_f32_e32 v70, 0x3f2c7751, v53
	v_add_f32_e32 v54, v71, v54
	;; [unrolled: 5-line block ×6, first 2 shown]
	v_fmamk_f32 v71, v51, 0x3f6eb680, v70
	v_fma_f32 v70, v51, s9, -v70
	v_mul_f32_e32 v53, 0xbf4c4adb, v53
	v_add_f32_e32 v67, v70, v67
	v_fmamk_f32 v70, v51, 0xbf1a4643, v53
	v_fma_f32 v51, v51, s14, -v53
	v_add_f32_e32 v37, v51, v37
	v_mul_f32_e32 v51, 0xbf4c4adb, v52
	v_fmamk_f32 v53, v50, 0xbf1a4643, v51
	v_fma_f32 v51, v50, s14, -v51
	v_add_f32_e32 v17, v51, v17
	v_mul_f32_e32 v51, 0x3f763a35, v52
	v_add_f32_e32 v39, v53, v39
	v_fmamk_f32 v53, v50, 0xbe8c1d8e, v51
	v_fma_f32 v51, v50, s15, -v51
	v_add_f32_e32 v1, v1, v73
	v_add_f32_e32 v45, v51, v45
	v_mul_f32_e32 v51, 0xbeb8f4ab, v52
	v_add_f32_e32 v1, v1, v72
	v_add_f32_e32 v53, v53, v54
	v_fmamk_f32 v54, v50, 0x3f6eb680, v51
	v_fma_f32 v51, v50, s9, -v51
	v_add_f32_e32 v51, v51, v55
	v_mul_f32_e32 v55, 0xbf06c442, v52
	v_add_f32_e32 v1, v1, v49
	v_add_f32_e32 v54, v54, v59
	v_fmamk_f32 v59, v50, 0xbf59a7d5, v55
	v_fma_f32 v55, v50, s17, -v55
	v_add_f32_e32 v1, v1, v48
	v_add_f32_e32 v55, v55, v58
	v_mul_f32_e32 v58, 0x3f7ee86f, v52
	v_add_f32_e32 v1, v1, v64
	v_add_f32_e32 v59, v59, v60
	v_fmamk_f32 v60, v50, 0x3dbcf732, v58
	v_fma_f32 v58, v50, s12, -v58
	v_add_f32_e32 v1, v1, v65
	;; [unrolled: 7-line block ×3, first 2 shown]
	v_add_f32_e32 v61, v61, v63
	v_mul_f32_e32 v63, 0xbe3c28d5, v52
	v_add_f32_e32 v1, v1, v46
	v_add_f32_e32 v62, v62, v66
	v_fmamk_f32 v66, v50, 0xbf7ba420, v63
	v_fma_f32 v63, v50, s16, -v63
	v_mul_f32_e32 v52, 0x3f65296c, v52
	v_add_f32_e32 v1, v1, v47
	v_add_f32_e32 v63, v63, v67
	v_fmamk_f32 v67, v50, 0x3ee437d1, v52
	v_fma_f32 v50, v50, s13, -v52
	v_add_f32_e32 v1, v1, v40
	v_pk_add_f32 v[46:47], v[76:77], v[68:69] neg_lo:[0,1] neg_hi:[0,1]
	v_add_f32_e32 v37, v50, v37
	v_add_f32_e32 v50, v1, v41
	v_pk_add_f32 v[40:41], v[48:49], v[64:65]
	v_mul_f32_e32 v1, 0xbf06c442, v47
	v_fmamk_f32 v48, v41, 0xbf59a7d5, v1
	v_fma_f32 v1, v41, s17, -v1
	v_add_f32_e32 v1, v1, v17
	v_mul_f32_e32 v17, 0x3f65296c, v47
	v_add_f32_e32 v39, v48, v39
	v_fmamk_f32 v48, v41, 0x3ee437d1, v17
	v_fma_f32 v17, v41, s13, -v17
	v_add_f32_e32 v17, v17, v45
	v_mul_f32_e32 v45, 0xbf7ee86f, v47
	v_fmamk_f32 v49, v41, 0x3dbcf732, v45
	v_fma_f32 v45, v41, s12, -v45
	v_add_f32_e32 v45, v45, v51
	v_mul_f32_e32 v51, 0x3f4c4adb, v47
	v_add_f32_e32 v48, v48, v53
	v_fmamk_f32 v52, v41, 0xbf1a4643, v51
	v_fma_f32 v51, v41, s14, -v51
	v_mul_f32_e32 v53, 0xbeb8f4ab, v47
	v_add_f32_e32 v49, v49, v54
	v_add_f32_e32 v51, v51, v55
	v_fmamk_f32 v54, v41, 0x3f6eb680, v53
	v_fma_f32 v53, v41, s9, -v53
	v_mul_f32_e32 v55, 0xbe3c28d5, v47
	v_mul_f32_e32 v57, 0x3f2c7751, v47
	;; [unrolled: 1-line block ×3, first 2 shown]
	v_add_f32_e32 v52, v52, v59
	v_add_f32_e32 v53, v53, v58
	v_fmamk_f32 v56, v41, 0xbf7ba420, v55
	v_fma_f32 v55, v41, s16, -v55
	v_fmamk_f32 v58, v41, 0x3f3d2fb0, v57
	v_fma_f32 v57, v41, s8, -v57
	;; [unrolled: 2-line block ×3, first 2 shown]
	v_add_f32_e32 v37, v41, v37
	v_mul_f32_e32 v41, 0xbe3c28d5, v46
	v_fmamk_f32 v47, v40, 0xbf7ba420, v41
	v_fma_f32 v41, v40, s16, -v41
	v_add_f32_e32 v1, v41, v1
	v_mul_f32_e32 v41, 0x3eb8f4ab, v46
	v_add_f32_e32 v39, v47, v39
	v_fmamk_f32 v47, v40, 0x3f6eb680, v41
	v_fma_f32 v41, v40, s9, -v41
	v_add_f32_e32 v17, v41, v17
	v_mul_f32_e32 v41, 0xbf06c442, v46
	v_add_f32_e32 v47, v47, v48
	;; [unrolled: 5-line block ×4, first 2 shown]
	v_fmamk_f32 v52, v40, 0xbf1a4643, v51
	v_fma_f32 v51, v40, s14, -v51
	v_add_f32_e32 v54, v54, v60
	v_add_f32_e32 v51, v51, v53
	v_mul_f32_e32 v53, 0x3f65296c, v46
	v_add_f32_e32 v55, v55, v61
	v_add_f32_e32 v52, v52, v54
	v_fmamk_f32 v54, v40, 0x3ee437d1, v53
	v_fma_f32 v53, v40, s13, -v53
	v_add_f32_e32 v71, v71, v78
	v_add_f32_e32 v70, v70, v79
	;; [unrolled: 1-line block ×4, first 2 shown]
	v_mul_f32_e32 v55, 0xbf763a35, v46
	v_add_f32_e32 v66, v66, v71
	v_add_f32_e32 v67, v67, v70
	;; [unrolled: 1-line block ×4, first 2 shown]
	v_fmamk_f32 v56, v40, 0xbe8c1d8e, v55
	v_fma_f32 v55, v40, s15, -v55
	v_mul_f32_e32 v46, 0x3f7ee86f, v46
	v_add_f32_e32 v58, v58, v66
	v_add_f32_e32 v59, v59, v67
	;; [unrolled: 1-line block ×3, first 2 shown]
	v_fmamk_f32 v57, v40, 0x3dbcf732, v46
	v_fma_f32 v40, v40, s12, -v46
	v_add_f32_e32 v56, v56, v58
	v_add_f32_e32 v57, v57, v59
	;; [unrolled: 1-line block ×3, first 2 shown]
	s_waitcnt lgkmcnt(0)
	s_barrier
	ds_write2_b32 v5, v50, v39 offset1:34
	ds_write2_b32 v5, v47, v48 offset0:68 offset1:102
	ds_write2_b32 v5, v49, v52 offset0:136 offset1:170
	ds_write2_b32 v5, v54, v56 offset0:204 offset1:238
	ds_write2_b32 v7, v57, v37 offset0:16 offset1:50
	ds_write2_b32 v7, v55, v53 offset0:84 offset1:118
	ds_write2_b32 v7, v51, v45 offset0:152 offset1:186
	ds_write2_b32 v7, v41, v17 offset0:220 offset1:254
	ds_write_b32 v5, v1 offset:2176
	v_add_u32_e32 v5, 0x800, v23
	s_waitcnt lgkmcnt(0)
	s_barrier
	ds_read2_b32 v[50:51], v5 offset0:66 offset1:134
	ds_read2_b32 v[52:53], v23 offset0:68 offset1:136
	;; [unrolled: 1-line block ×3, first 2 shown]
	v_add_u32_e32 v5, 0xc00, v23
	ds_read2_b32 v[46:47], v5 offset0:82 offset1:150
	ds_read2_b32 v[40:41], v13 offset0:90 offset1:158
	ds_read_b32 v45, v29
	ds_read_b32 v17, v23 offset:816
	ds_read_b32 v13, v31
	ds_read_b32 v11, v33
	;; [unrolled: 1-line block ×4, first 2 shown]
	s_and_saveexec_b64 s[0:1], vcc
	s_cbranch_execz .LBB0_24
; %bb.23:
	ds_read_b32 v1, v35 offset:2176
	ds_read_b32 v36, v23 offset:4488
	v_mov_b32_e32 v38, v27
.LBB0_24:
	s_or_b64 exec, exec, s[0:1]
	v_readlane_b32 s2, v121, 8
	v_readlane_b32 s3, v121, 9
	s_and_saveexec_b64 s[0:1], s[2:3]
	s_cbranch_execz .LBB0_27
; %bb.25:
	v_mov_b32_e32 v27, 0
	v_readlane_b32 s4, v121, 4
	v_mov_b32_e32 v23, v27
	v_readlane_b32 s5, v121, 5
	s_movk_i32 s3, 0x1000
	v_readlane_b32 s0, v121, 24
	v_lshl_add_u64 v[54:55], v[22:23], 3, s[4:5]
	v_add_co_u32_e32 v54, vcc, s3, v54
	v_readlane_b32 s1, v121, 25
	s_nop 0
	v_addc_co_u32_e32 v55, vcc, 0, v55, vcc
	global_load_dwordx2 v[56:57], v[54:55], off offset:392
	global_load_dwordx2 v[58:59], v[54:55], off offset:936
	;; [unrolled: 1-line block ×3, first 2 shown]
	v_mul_lo_u32 v23, s1, v24
	v_mul_lo_u32 v29, s0, v25
	v_mad_u64_u32 v[24:25], s[0:1], s0, v24, 0
	v_readlane_b32 s6, v121, 6
	v_readlane_b32 s7, v121, 7
	v_add3_u32 v25, v25, v29, v23
	v_mov_b32_e32 v33, v27
	v_mov_b32_e32 v31, v27
	;; [unrolled: 1-line block ×3, first 2 shown]
	v_lshl_add_u64 v[68:69], v[26:27], 3, s[4:5]
	v_lshl_add_u64 v[32:33], v[32:33], 3, s[4:5]
	;; [unrolled: 1-line block ×4, first 2 shown]
	v_readlane_b32 s4, v121, 0
	v_readlane_b32 s6, v121, 2
	v_readlane_b32 s7, v121, 3
	s_mov_b32 s2, 0xe2c4a689
	v_add_u32_e32 v35, 0x44, v22
	v_lshl_add_u64 v[24:25], v[24:25], 3, s[6:7]
	v_lshl_add_u64 v[20:21], v[20:21], 3, v[24:25]
	v_add_co_u32_e32 v24, vcc, s3, v28
	v_mul_hi_u32 v23, v22, s2
	s_nop 0
	v_addc_co_u32_e32 v25, vcc, 0, v29, vcc
	v_add_co_u32_e32 v28, vcc, s3, v30
	global_load_dwordx2 v[24:25], v[24:25], off offset:392
	s_nop 0
	v_addc_co_u32_e32 v29, vcc, 0, v31, vcc
	global_load_dwordx2 v[28:29], v[28:29], off offset:392
	v_add_u32_e32 v37, 0x88, v22
	global_load_dwordx2 v[54:55], v[54:55], off offset:2024
	v_mul_hi_u32 v26, v35, s2
	v_lshrrev_b32_e32 v23, 9, v23
	s_waitcnt lgkmcnt(9)
	v_mov_b32_e32 v63, v53
	v_mul_hi_u32 v39, v37, s2
	v_lshrrev_b32_e32 v53, 9, v26
	v_mul_u32_u24_e32 v23, 0x242, v23
	v_mov_b32_e32 v66, v51
	v_lshrrev_b32_e32 v39, 9, v39
	v_mul_u32_u24_e32 v26, 0x242, v53
	v_sub_u32_e32 v23, v22, v23
	v_mov_b32_e32 v62, v19
	v_mov_b32_e32 v19, v52
	s_movk_i32 s1, 0x484
	v_mov_b32_e32 v52, v43
	v_mov_b32_e32 v64, v43
	v_mul_u32_u24_e32 v65, 0x242, v39
	v_sub_u32_e32 v35, v35, v26
	v_lshlrev_b32_e32 v26, 3, v23
	v_lshl_add_u64 v[30:31], v[20:21], 0, v[26:27]
	v_mad_u32_u24 v26, v53, s1, v35
	v_add_co_u32_e32 v70, vcc, s3, v30
	v_lshl_add_u64 v[72:73], v[26:27], 3, v[20:21]
	s_nop 0
	v_addc_co_u32_e32 v71, vcc, 0, v31, vcc
	v_add_u32_e32 v26, 0x242, v26
	v_lshl_add_u64 v[74:75], v[26:27], 3, v[20:21]
	v_sub_u32_e32 v37, v37, v65
	v_mad_u32_u24 v26, v39, s1, v37
	v_lshl_add_u64 v[76:77], v[26:27], 3, v[20:21]
	v_add_u32_e32 v26, 0x242, v26
	v_lshl_add_u64 v[78:79], v[26:27], 3, v[20:21]
	s_movk_i32 s0, 0x242
	v_readlane_b32 s5, v121, 1
	s_waitcnt vmcnt(5)
	v_pk_mul_f32 v[50:51], v[50:51], v[56:57] op_sel:[0,1] op_sel_hi:[0,0]
	s_waitcnt vmcnt(4)
	v_pk_mul_f32 v[66:67], v[66:67], v[58:59] op_sel:[0,1] op_sel_hi:[0,0]
	v_pk_fma_f32 v[80:81], v[42:43], v[56:57], v[50:51] neg_lo:[0,0,1] neg_hi:[0,0,1]
	v_pk_fma_f32 v[42:43], v[42:43], v[56:57], v[50:51] op_sel_hi:[0,1,1]
	v_pk_fma_f32 v[50:51], v[52:53], v[58:59], v[66:67] neg_lo:[0,0,1] neg_hi:[0,0,1]
	v_pk_fma_f32 v[52:53], v[64:65], v[58:59], v[66:67] op_sel_hi:[0,1,1]
	v_mov_b32_e32 v81, v43
	v_mov_b32_e32 v51, v53
	s_waitcnt lgkmcnt(5)
	v_pk_add_f32 v[42:43], v[44:45], v[80:81] neg_lo:[0,1] neg_hi:[0,1]
	v_pk_add_f32 v[50:51], v[18:19], v[50:51] neg_lo:[0,1] neg_hi:[0,1]
	v_pk_fma_f32 v[44:45], v[44:45], 2.0, v[42:43] op_sel_hi:[1,0,1] neg_lo:[0,0,1] neg_hi:[0,0,1]
	v_pk_fma_f32 v[18:19], v[18:19], 2.0, v[50:51] op_sel_hi:[1,0,1] neg_lo:[0,0,1] neg_hi:[0,0,1]
	global_store_dwordx2 v[70:71], v[42:43], off offset:528
	global_store_dwordx2 v[30:31], v[44:45], off
	global_store_dwordx2 v[72:73], v[18:19], off
	;; [unrolled: 1-line block ×3, first 2 shown]
	v_add_co_u32_e32 v18, vcc, s3, v32
	s_waitcnt vmcnt(7)
	v_pk_mul_f32 v[30:31], v[48:49], v[60:61] op_sel:[0,1] op_sel_hi:[0,0]
	v_addc_co_u32_e32 v19, vcc, 0, v33, vcc
	global_load_dwordx2 v[18:19], v[18:19], off offset:392
	v_pk_fma_f32 v[32:33], v[14:15], v[60:61], v[30:31] neg_lo:[0,0,1] neg_hi:[0,0,1]
	v_pk_fma_f32 v[30:31], v[14:15], v[60:61], v[30:31] op_sel_hi:[0,1,1]
	v_mov_b32_e32 v33, v31
	v_pk_add_f32 v[30:31], v[62:63], v[32:33] neg_lo:[0,1] neg_hi:[0,1]
	v_add_u32_e32 v14, 0xcc, v22
	v_pk_fma_f32 v[32:33], v[62:63], 2.0, v[30:31] op_sel_hi:[1,0,1] neg_lo:[0,0,1] neg_hi:[0,0,1]
	global_store_dwordx2 v[76:77], v[32:33], off
	global_store_dwordx2 v[78:79], v[30:31], off
	v_add_co_u32_e32 v32, vcc, s3, v68
	v_mul_hi_u32 v23, v14, s2
	s_nop 0
	v_addc_co_u32_e32 v33, vcc, 0, v69, vcc
	global_load_dwordx2 v[32:33], v[32:33], off offset:392
	v_lshrrev_b32_e32 v23, 9, v23
	v_mul_u32_u24_e32 v26, 0x242, v23
	v_sub_u32_e32 v14, v14, v26
	v_mad_u32_u24 v26, v23, s1, v14
	v_lshl_add_u64 v[30:31], v[26:27], 3, v[20:21]
	v_add_u32_e32 v26, 0x242, v26
	v_mov_b32_e32 v44, v49
	v_lshl_add_u64 v[42:43], v[26:27], 3, v[20:21]
	v_mov_b32_e32 v14, v15
	v_mov_b32_e32 v26, v15
	s_waitcnt vmcnt(8)
	v_pk_mul_f32 v[44:45], v[44:45], v[54:55] op_sel:[0,1] op_sel_hi:[0,0]
	v_pk_fma_f32 v[14:15], v[14:15], v[54:55], v[44:45] neg_lo:[0,0,1] neg_hi:[0,0,1]
	v_pk_fma_f32 v[44:45], v[26:27], v[54:55], v[44:45] op_sel_hi:[0,1,1]
	v_mov_b32_e32 v15, v45
	s_waitcnt lgkmcnt(4)
	v_pk_add_f32 v[14:15], v[16:17], v[14:15] neg_lo:[0,1] neg_hi:[0,1]
	s_nop 0
	v_pk_fma_f32 v[16:17], v[16:17], 2.0, v[14:15] op_sel_hi:[1,0,1] neg_lo:[0,0,1] neg_hi:[0,0,1]
	global_store_dwordx2 v[30:31], v[16:17], off
	global_store_dwordx2 v[42:43], v[14:15], off
	v_add_u32_e32 v14, 0x110, v22
	v_mul_hi_u32 v15, v14, s2
	v_lshrrev_b32_e32 v15, 9, v15
	v_pk_mul_f32 v[30:31], v[46:47], v[24:25] op_sel:[0,1] op_sel_hi:[0,0]
	v_mul_u32_u24_e32 v16, 0x242, v15
	v_pk_fma_f32 v[42:43], v[8:9], v[24:25], v[30:31] neg_lo:[0,0,1] neg_hi:[0,0,1]
	v_pk_fma_f32 v[24:25], v[8:9], v[24:25], v[30:31] op_sel_hi:[0,1,1]
	v_sub_u32_e32 v14, v14, v16
	v_mov_b32_e32 v43, v25
	v_mad_u32_u24 v26, v15, s1, v14
	s_waitcnt lgkmcnt(3)
	v_pk_add_f32 v[24:25], v[12:13], v[42:43] neg_lo:[0,1] neg_hi:[0,1]
	v_lshl_add_u64 v[14:15], v[26:27], 3, v[20:21]
	v_add_u32_e32 v26, 0x242, v26
	v_pk_fma_f32 v[12:13], v[12:13], 2.0, v[24:25] op_sel_hi:[1,0,1] neg_lo:[0,0,1] neg_hi:[0,0,1]
	v_add_u32_e32 v8, 0x154, v22
	v_lshl_add_u64 v[16:17], v[26:27], 3, v[20:21]
	global_store_dwordx2 v[14:15], v[12:13], off
	global_store_dwordx2 v[16:17], v[24:25], off
	v_mul_hi_u32 v12, v8, s2
	v_lshrrev_b32_e32 v12, 9, v12
	v_mul_u32_u24_e32 v13, 0x242, v12
	v_sub_u32_e32 v8, v8, v13
	v_mov_b32_e32 v24, v47
	v_mad_u32_u24 v26, v12, s1, v8
	v_mov_b32_e32 v8, v9
	v_mov_b32_e32 v16, v9
	v_pk_mul_f32 v[24:25], v[24:25], v[28:29] op_sel:[0,1] op_sel_hi:[0,0]
	v_pk_fma_f32 v[8:9], v[8:9], v[28:29], v[24:25] neg_lo:[0,0,1] neg_hi:[0,0,1]
	v_pk_fma_f32 v[16:17], v[16:17], v[28:29], v[24:25] op_sel_hi:[0,1,1]
	v_mov_b32_e32 v9, v17
	s_waitcnt lgkmcnt(2)
	v_pk_add_f32 v[8:9], v[10:11], v[8:9] neg_lo:[0,1] neg_hi:[0,1]
	v_lshl_add_u64 v[12:13], v[26:27], 3, v[20:21]
	v_add_u32_e32 v26, 0x242, v26
	v_pk_fma_f32 v[10:11], v[10:11], 2.0, v[8:9] op_sel_hi:[1,0,1] neg_lo:[0,0,1] neg_hi:[0,0,1]
	v_lshl_add_u64 v[14:15], v[26:27], 3, v[20:21]
	global_store_dwordx2 v[12:13], v[10:11], off
	global_store_dwordx2 v[14:15], v[8:9], off
	v_add_u32_e32 v8, 0x198, v22
	v_mul_hi_u32 v9, v8, s2
	v_lshrrev_b32_e32 v9, 9, v9
	v_mul_u32_u24_e32 v10, 0x242, v9
	v_sub_u32_e32 v8, v8, v10
	v_mad_u32_u24 v26, v9, s1, v8
	v_lshl_add_u64 v[8:9], v[26:27], 3, v[20:21]
	v_add_u32_e32 v26, 0x242, v26
	v_lshl_add_u64 v[10:11], v[26:27], 3, v[20:21]
	s_waitcnt vmcnt(9)
	v_pk_mul_f32 v[12:13], v[40:41], v[18:19] op_sel:[0,1] op_sel_hi:[0,0]
	v_pk_fma_f32 v[14:15], v[2:3], v[18:19], v[12:13] neg_lo:[0,0,1] neg_hi:[0,0,1]
	v_pk_fma_f32 v[12:13], v[2:3], v[18:19], v[12:13] op_sel_hi:[0,1,1]
	v_mov_b32_e32 v15, v13
	s_waitcnt lgkmcnt(1)
	v_pk_add_f32 v[12:13], v[6:7], v[14:15] neg_lo:[0,1] neg_hi:[0,1]
	v_add_u32_e32 v2, 0x1dc, v22
	v_pk_fma_f32 v[6:7], v[6:7], 2.0, v[12:13] op_sel_hi:[1,0,1] neg_lo:[0,0,1] neg_hi:[0,0,1]
	global_store_dwordx2 v[8:9], v[6:7], off
	global_store_dwordx2 v[10:11], v[12:13], off
	v_mul_hi_u32 v6, v2, s2
	v_lshrrev_b32_e32 v6, 9, v6
	v_mul_u32_u24_e32 v7, 0x242, v6
	v_sub_u32_e32 v2, v2, v7
	v_mov_b32_e32 v12, v41
	v_mad_u32_u24 v26, v6, s1, v2
	v_mov_b32_e32 v2, v3
	v_mov_b32_e32 v10, v3
	s_waitcnt vmcnt(8)
	v_pk_mul_f32 v[12:13], v[12:13], v[32:33] op_sel:[0,1] op_sel_hi:[0,0]
	v_pk_fma_f32 v[2:3], v[2:3], v[32:33], v[12:13] neg_lo:[0,0,1] neg_hi:[0,0,1]
	v_pk_fma_f32 v[10:11], v[10:11], v[32:33], v[12:13] op_sel_hi:[0,1,1]
	v_lshl_add_u64 v[6:7], v[26:27], 3, v[20:21]
	v_add_u32_e32 v26, 0x242, v26
	v_mov_b32_e32 v3, v11
	v_lshl_add_u64 v[8:9], v[26:27], 3, v[20:21]
	s_waitcnt lgkmcnt(0)
	v_pk_add_f32 v[2:3], v[4:5], v[2:3] neg_lo:[0,1] neg_hi:[0,1]
	v_add_u32_e32 v26, 0x220, v22
	v_pk_fma_f32 v[4:5], v[4:5], 2.0, v[2:3] op_sel_hi:[1,0,1] neg_lo:[0,0,1] neg_hi:[0,0,1]
	v_cmp_gt_u32_e32 vcc, s0, v26
	global_store_dwordx2 v[6:7], v[4:5], off
	global_store_dwordx2 v[8:9], v[2:3], off
	s_and_b64 exec, exec, vcc
	s_cbranch_execz .LBB0_27
; %bb.26:
	v_readlane_b32 s0, v121, 4
	v_mov_b32_e32 v39, v27
	v_readlane_b32 s1, v121, 5
	v_lshl_add_u64 v[4:5], v[26:27], 3, v[20:21]
	v_add_u32_e32 v26, 0x462, v22
	v_lshl_add_u64 v[2:3], v[38:39], 3, s[0:1]
	v_add_co_u32_e32 v2, vcc, 0x1000, v2
	v_readlane_b32 s2, v121, 6
	s_nop 0
	v_addc_co_u32_e32 v3, vcc, 0, v3, vcc
	global_load_dwordx2 v[2:3], v[2:3], off offset:392
	v_readlane_b32 s3, v121, 7
	v_lshl_add_u64 v[6:7], v[26:27], 3, v[20:21]
	s_waitcnt vmcnt(0)
	v_pk_mul_f32 v[8:9], v[36:37], v[2:3] op_sel_hi:[0,1]
	v_pk_fma_f32 v[10:11], v[34:35], v[2:3], v[8:9] op_sel:[0,0,1] op_sel_hi:[1,1,0] neg_lo:[0,0,1] neg_hi:[0,0,1]
	v_pk_fma_f32 v[2:3], v[34:35], v[2:3], v[8:9] op_sel:[0,0,1] op_sel_hi:[0,1,0]
	v_mov_b32_e32 v11, v3
	v_pk_add_f32 v[2:3], v[0:1], v[10:11] neg_lo:[0,1] neg_hi:[0,1]
	s_nop 0
	v_pk_fma_f32 v[0:1], v[0:1], 2.0, v[2:3] op_sel_hi:[1,0,1] neg_lo:[0,0,1] neg_hi:[0,0,1]
	global_store_dwordx2 v[4:5], v[0:1], off
	global_store_dwordx2 v[6:7], v[2:3], off
.LBB0_27:
	s_endpgm
	.section	.rodata,"a",@progbits
	.p2align	6, 0x0
	.amdhsa_kernel fft_rtc_fwd_len1156_factors_17_2_17_2_wgs_204_tpt_68_halfLds_sp_op_CI_CI_unitstride_sbrr_dirReg
		.amdhsa_group_segment_fixed_size 0
		.amdhsa_private_segment_fixed_size 0
		.amdhsa_kernarg_size 104
		.amdhsa_user_sgpr_count 2
		.amdhsa_user_sgpr_dispatch_ptr 0
		.amdhsa_user_sgpr_queue_ptr 0
		.amdhsa_user_sgpr_kernarg_segment_ptr 1
		.amdhsa_user_sgpr_dispatch_id 0
		.amdhsa_user_sgpr_kernarg_preload_length 0
		.amdhsa_user_sgpr_kernarg_preload_offset 0
		.amdhsa_user_sgpr_private_segment_size 0
		.amdhsa_uses_dynamic_stack 0
		.amdhsa_enable_private_segment 0
		.amdhsa_system_sgpr_workgroup_id_x 1
		.amdhsa_system_sgpr_workgroup_id_y 0
		.amdhsa_system_sgpr_workgroup_id_z 0
		.amdhsa_system_sgpr_workgroup_info 0
		.amdhsa_system_vgpr_workitem_id 0
		.amdhsa_next_free_vgpr 148
		.amdhsa_next_free_sgpr 100
		.amdhsa_accum_offset 148
		.amdhsa_reserve_vcc 1
		.amdhsa_float_round_mode_32 0
		.amdhsa_float_round_mode_16_64 0
		.amdhsa_float_denorm_mode_32 3
		.amdhsa_float_denorm_mode_16_64 3
		.amdhsa_dx10_clamp 1
		.amdhsa_ieee_mode 1
		.amdhsa_fp16_overflow 0
		.amdhsa_tg_split 0
		.amdhsa_exception_fp_ieee_invalid_op 0
		.amdhsa_exception_fp_denorm_src 0
		.amdhsa_exception_fp_ieee_div_zero 0
		.amdhsa_exception_fp_ieee_overflow 0
		.amdhsa_exception_fp_ieee_underflow 0
		.amdhsa_exception_fp_ieee_inexact 0
		.amdhsa_exception_int_div_zero 0
	.end_amdhsa_kernel
	.text
.Lfunc_end0:
	.size	fft_rtc_fwd_len1156_factors_17_2_17_2_wgs_204_tpt_68_halfLds_sp_op_CI_CI_unitstride_sbrr_dirReg, .Lfunc_end0-fft_rtc_fwd_len1156_factors_17_2_17_2_wgs_204_tpt_68_halfLds_sp_op_CI_CI_unitstride_sbrr_dirReg
                                        ; -- End function
	.section	.AMDGPU.csdata,"",@progbits
; Kernel info:
; codeLenInByte = 15488
; NumSgprs: 106
; NumVgprs: 148
; NumAgprs: 0
; TotalNumVgprs: 148
; ScratchSize: 0
; MemoryBound: 0
; FloatMode: 240
; IeeeMode: 1
; LDSByteSize: 0 bytes/workgroup (compile time only)
; SGPRBlocks: 13
; VGPRBlocks: 18
; NumSGPRsForWavesPerEU: 106
; NumVGPRsForWavesPerEU: 148
; AccumOffset: 148
; Occupancy: 3
; WaveLimiterHint : 1
; COMPUTE_PGM_RSRC2:SCRATCH_EN: 0
; COMPUTE_PGM_RSRC2:USER_SGPR: 2
; COMPUTE_PGM_RSRC2:TRAP_HANDLER: 0
; COMPUTE_PGM_RSRC2:TGID_X_EN: 1
; COMPUTE_PGM_RSRC2:TGID_Y_EN: 0
; COMPUTE_PGM_RSRC2:TGID_Z_EN: 0
; COMPUTE_PGM_RSRC2:TIDIG_COMP_CNT: 0
; COMPUTE_PGM_RSRC3_GFX90A:ACCUM_OFFSET: 36
; COMPUTE_PGM_RSRC3_GFX90A:TG_SPLIT: 0
	.text
	.p2alignl 6, 3212836864
	.fill 256, 4, 3212836864
	.type	__hip_cuid_8227bfeeea9a2ca4,@object ; @__hip_cuid_8227bfeeea9a2ca4
	.section	.bss,"aw",@nobits
	.globl	__hip_cuid_8227bfeeea9a2ca4
__hip_cuid_8227bfeeea9a2ca4:
	.byte	0                               ; 0x0
	.size	__hip_cuid_8227bfeeea9a2ca4, 1

	.ident	"AMD clang version 19.0.0git (https://github.com/RadeonOpenCompute/llvm-project roc-6.4.0 25133 c7fe45cf4b819c5991fe208aaa96edf142730f1d)"
	.section	".note.GNU-stack","",@progbits
	.addrsig
	.addrsig_sym __hip_cuid_8227bfeeea9a2ca4
	.amdgpu_metadata
---
amdhsa.kernels:
  - .agpr_count:     0
    .args:
      - .actual_access:  read_only
        .address_space:  global
        .offset:         0
        .size:           8
        .value_kind:     global_buffer
      - .offset:         8
        .size:           8
        .value_kind:     by_value
      - .actual_access:  read_only
        .address_space:  global
        .offset:         16
        .size:           8
        .value_kind:     global_buffer
      - .actual_access:  read_only
        .address_space:  global
        .offset:         24
        .size:           8
        .value_kind:     global_buffer
      - .actual_access:  read_only
        .address_space:  global
        .offset:         32
        .size:           8
        .value_kind:     global_buffer
      - .offset:         40
        .size:           8
        .value_kind:     by_value
      - .actual_access:  read_only
        .address_space:  global
        .offset:         48
        .size:           8
        .value_kind:     global_buffer
      - .actual_access:  read_only
        .address_space:  global
        .offset:         56
        .size:           8
        .value_kind:     global_buffer
      - .offset:         64
        .size:           4
        .value_kind:     by_value
      - .actual_access:  read_only
        .address_space:  global
        .offset:         72
        .size:           8
        .value_kind:     global_buffer
      - .actual_access:  read_only
        .address_space:  global
        .offset:         80
        .size:           8
        .value_kind:     global_buffer
      - .actual_access:  read_only
        .address_space:  global
        .offset:         88
        .size:           8
        .value_kind:     global_buffer
      - .actual_access:  write_only
        .address_space:  global
        .offset:         96
        .size:           8
        .value_kind:     global_buffer
    .group_segment_fixed_size: 0
    .kernarg_segment_align: 8
    .kernarg_segment_size: 104
    .language:       OpenCL C
    .language_version:
      - 2
      - 0
    .max_flat_workgroup_size: 204
    .name:           fft_rtc_fwd_len1156_factors_17_2_17_2_wgs_204_tpt_68_halfLds_sp_op_CI_CI_unitstride_sbrr_dirReg
    .private_segment_fixed_size: 0
    .sgpr_count:     106
    .sgpr_spill_count: 26
    .symbol:         fft_rtc_fwd_len1156_factors_17_2_17_2_wgs_204_tpt_68_halfLds_sp_op_CI_CI_unitstride_sbrr_dirReg.kd
    .uniform_work_group_size: 1
    .uses_dynamic_stack: false
    .vgpr_count:     148
    .vgpr_spill_count: 0
    .wavefront_size: 64
amdhsa.target:   amdgcn-amd-amdhsa--gfx950
amdhsa.version:
  - 1
  - 2
...

	.end_amdgpu_metadata
